;; amdgpu-corpus repo=ROCm/rocFFT kind=compiled arch=gfx1201 opt=O3
	.text
	.amdgcn_target "amdgcn-amd-amdhsa--gfx1201"
	.amdhsa_code_object_version 6
	.protected	fft_rtc_back_len650_factors_10_5_13_wgs_195_tpt_65_dp_ip_CI_unitstride_sbrr_R2C_dirReg ; -- Begin function fft_rtc_back_len650_factors_10_5_13_wgs_195_tpt_65_dp_ip_CI_unitstride_sbrr_R2C_dirReg
	.globl	fft_rtc_back_len650_factors_10_5_13_wgs_195_tpt_65_dp_ip_CI_unitstride_sbrr_R2C_dirReg
	.p2align	8
	.type	fft_rtc_back_len650_factors_10_5_13_wgs_195_tpt_65_dp_ip_CI_unitstride_sbrr_R2C_dirReg,@function
fft_rtc_back_len650_factors_10_5_13_wgs_195_tpt_65_dp_ip_CI_unitstride_sbrr_R2C_dirReg: ; @fft_rtc_back_len650_factors_10_5_13_wgs_195_tpt_65_dp_ip_CI_unitstride_sbrr_R2C_dirReg
; %bb.0:
	s_load_b128 s[4:7], s[0:1], 0x0
	v_mul_u32_u24_e32 v1, 0x3f1, v0
	s_clause 0x1
	s_load_b64 s[8:9], s[0:1], 0x50
	s_load_b64 s[10:11], s[0:1], 0x18
	v_mov_b32_e32 v5, 0
	v_lshrrev_b32_e32 v1, 16, v1
	s_delay_alu instid0(VALU_DEP_1) | instskip(SKIP_3) | instid1(VALU_DEP_1)
	v_mad_co_u64_u32 v[1:2], null, ttmp9, 3, v[1:2]
	v_mov_b32_e32 v3, 0
	v_mov_b32_e32 v4, 0
	;; [unrolled: 1-line block ×4, first 2 shown]
	s_wait_kmcnt 0x0
	v_cmp_lt_u64_e64 s2, s[6:7], 2
	v_mov_b32_e32 v9, v1
	s_delay_alu instid0(VALU_DEP_2)
	s_and_b32 vcc_lo, exec_lo, s2
	s_cbranch_vccnz .LBB0_8
; %bb.1:
	s_load_b64 s[2:3], s[0:1], 0x10
	v_dual_mov_b32 v3, 0 :: v_dual_mov_b32 v8, v2
	v_dual_mov_b32 v4, 0 :: v_dual_mov_b32 v7, v1
	s_add_nc_u64 s[12:13], s[10:11], 8
	s_mov_b64 s[14:15], 1
	s_wait_kmcnt 0x0
	s_add_nc_u64 s[16:17], s[2:3], 8
	s_mov_b32 s3, 0
.LBB0_2:                                ; =>This Inner Loop Header: Depth=1
	s_load_b64 s[18:19], s[16:17], 0x0
                                        ; implicit-def: $vgpr9_vgpr10
	s_mov_b32 s2, exec_lo
	s_wait_kmcnt 0x0
	v_or_b32_e32 v6, s19, v8
	s_delay_alu instid0(VALU_DEP_1)
	v_cmpx_ne_u64_e32 0, v[5:6]
	s_wait_alu 0xfffe
	s_xor_b32 s20, exec_lo, s2
	s_cbranch_execz .LBB0_4
; %bb.3:                                ;   in Loop: Header=BB0_2 Depth=1
	s_cvt_f32_u32 s2, s18
	s_cvt_f32_u32 s21, s19
	s_sub_nc_u64 s[24:25], 0, s[18:19]
	s_wait_alu 0xfffe
	s_delay_alu instid0(SALU_CYCLE_1) | instskip(SKIP_1) | instid1(SALU_CYCLE_2)
	s_fmamk_f32 s2, s21, 0x4f800000, s2
	s_wait_alu 0xfffe
	v_s_rcp_f32 s2, s2
	s_delay_alu instid0(TRANS32_DEP_1) | instskip(SKIP_1) | instid1(SALU_CYCLE_2)
	s_mul_f32 s2, s2, 0x5f7ffffc
	s_wait_alu 0xfffe
	s_mul_f32 s21, s2, 0x2f800000
	s_wait_alu 0xfffe
	s_delay_alu instid0(SALU_CYCLE_2) | instskip(SKIP_1) | instid1(SALU_CYCLE_2)
	s_trunc_f32 s21, s21
	s_wait_alu 0xfffe
	s_fmamk_f32 s2, s21, 0xcf800000, s2
	s_cvt_u32_f32 s23, s21
	s_wait_alu 0xfffe
	s_delay_alu instid0(SALU_CYCLE_1) | instskip(SKIP_1) | instid1(SALU_CYCLE_2)
	s_cvt_u32_f32 s22, s2
	s_wait_alu 0xfffe
	s_mul_u64 s[26:27], s[24:25], s[22:23]
	s_wait_alu 0xfffe
	s_mul_hi_u32 s29, s22, s27
	s_mul_i32 s28, s22, s27
	s_mul_hi_u32 s2, s22, s26
	s_mul_i32 s30, s23, s26
	s_wait_alu 0xfffe
	s_add_nc_u64 s[28:29], s[2:3], s[28:29]
	s_mul_hi_u32 s21, s23, s26
	s_mul_hi_u32 s31, s23, s27
	s_add_co_u32 s2, s28, s30
	s_wait_alu 0xfffe
	s_add_co_ci_u32 s2, s29, s21
	s_mul_i32 s26, s23, s27
	s_add_co_ci_u32 s27, s31, 0
	s_wait_alu 0xfffe
	s_add_nc_u64 s[26:27], s[2:3], s[26:27]
	s_wait_alu 0xfffe
	v_add_co_u32 v2, s2, s22, s26
	s_delay_alu instid0(VALU_DEP_1) | instskip(SKIP_1) | instid1(VALU_DEP_1)
	s_cmp_lg_u32 s2, 0
	s_add_co_ci_u32 s23, s23, s27
	v_readfirstlane_b32 s22, v2
	s_wait_alu 0xfffe
	s_delay_alu instid0(VALU_DEP_1)
	s_mul_u64 s[24:25], s[24:25], s[22:23]
	s_wait_alu 0xfffe
	s_mul_hi_u32 s27, s22, s25
	s_mul_i32 s26, s22, s25
	s_mul_hi_u32 s2, s22, s24
	s_mul_i32 s28, s23, s24
	s_wait_alu 0xfffe
	s_add_nc_u64 s[26:27], s[2:3], s[26:27]
	s_mul_hi_u32 s21, s23, s24
	s_mul_hi_u32 s22, s23, s25
	s_wait_alu 0xfffe
	s_add_co_u32 s2, s26, s28
	s_add_co_ci_u32 s2, s27, s21
	s_mul_i32 s24, s23, s25
	s_add_co_ci_u32 s25, s22, 0
	s_wait_alu 0xfffe
	s_add_nc_u64 s[24:25], s[2:3], s[24:25]
	s_wait_alu 0xfffe
	v_add_co_u32 v2, s2, v2, s24
	s_delay_alu instid0(VALU_DEP_1) | instskip(SKIP_1) | instid1(VALU_DEP_1)
	s_cmp_lg_u32 s2, 0
	s_add_co_ci_u32 s2, s23, s25
	v_mul_hi_u32 v6, v7, v2
	s_wait_alu 0xfffe
	v_mad_co_u64_u32 v[9:10], null, v7, s2, 0
	v_mad_co_u64_u32 v[11:12], null, v8, v2, 0
	;; [unrolled: 1-line block ×3, first 2 shown]
	s_delay_alu instid0(VALU_DEP_3) | instskip(SKIP_1) | instid1(VALU_DEP_4)
	v_add_co_u32 v2, vcc_lo, v6, v9
	s_wait_alu 0xfffd
	v_add_co_ci_u32_e32 v6, vcc_lo, 0, v10, vcc_lo
	s_delay_alu instid0(VALU_DEP_2) | instskip(SKIP_1) | instid1(VALU_DEP_2)
	v_add_co_u32 v2, vcc_lo, v2, v11
	s_wait_alu 0xfffd
	v_add_co_ci_u32_e32 v2, vcc_lo, v6, v12, vcc_lo
	s_wait_alu 0xfffd
	v_add_co_ci_u32_e32 v6, vcc_lo, 0, v14, vcc_lo
	s_delay_alu instid0(VALU_DEP_2) | instskip(SKIP_1) | instid1(VALU_DEP_2)
	v_add_co_u32 v2, vcc_lo, v2, v13
	s_wait_alu 0xfffd
	v_add_co_ci_u32_e32 v6, vcc_lo, 0, v6, vcc_lo
	s_delay_alu instid0(VALU_DEP_2) | instskip(SKIP_1) | instid1(VALU_DEP_3)
	v_mul_lo_u32 v11, s19, v2
	v_mad_co_u64_u32 v[9:10], null, s18, v2, 0
	v_mul_lo_u32 v12, s18, v6
	s_delay_alu instid0(VALU_DEP_2) | instskip(NEXT) | instid1(VALU_DEP_2)
	v_sub_co_u32 v9, vcc_lo, v7, v9
	v_add3_u32 v10, v10, v12, v11
	s_delay_alu instid0(VALU_DEP_1) | instskip(SKIP_1) | instid1(VALU_DEP_1)
	v_sub_nc_u32_e32 v11, v8, v10
	s_wait_alu 0xfffd
	v_subrev_co_ci_u32_e64 v11, s2, s19, v11, vcc_lo
	v_add_co_u32 v12, s2, v2, 2
	s_wait_alu 0xf1ff
	v_add_co_ci_u32_e64 v13, s2, 0, v6, s2
	v_sub_co_u32 v14, s2, v9, s18
	v_sub_co_ci_u32_e32 v10, vcc_lo, v8, v10, vcc_lo
	s_wait_alu 0xf1ff
	v_subrev_co_ci_u32_e64 v11, s2, 0, v11, s2
	s_delay_alu instid0(VALU_DEP_3) | instskip(NEXT) | instid1(VALU_DEP_3)
	v_cmp_le_u32_e32 vcc_lo, s18, v14
	v_cmp_eq_u32_e64 s2, s19, v10
	s_wait_alu 0xfffd
	v_cndmask_b32_e64 v14, 0, -1, vcc_lo
	v_cmp_le_u32_e32 vcc_lo, s19, v11
	s_wait_alu 0xfffd
	v_cndmask_b32_e64 v15, 0, -1, vcc_lo
	v_cmp_le_u32_e32 vcc_lo, s18, v9
	;; [unrolled: 3-line block ×3, first 2 shown]
	s_wait_alu 0xfffd
	v_cndmask_b32_e64 v16, 0, -1, vcc_lo
	v_cmp_eq_u32_e32 vcc_lo, s19, v11
	s_wait_alu 0xf1ff
	s_delay_alu instid0(VALU_DEP_2)
	v_cndmask_b32_e64 v9, v16, v9, s2
	s_wait_alu 0xfffd
	v_cndmask_b32_e32 v11, v15, v14, vcc_lo
	v_add_co_u32 v14, vcc_lo, v2, 1
	s_wait_alu 0xfffd
	v_add_co_ci_u32_e32 v15, vcc_lo, 0, v6, vcc_lo
	s_delay_alu instid0(VALU_DEP_3) | instskip(SKIP_1) | instid1(VALU_DEP_2)
	v_cmp_ne_u32_e32 vcc_lo, 0, v11
	s_wait_alu 0xfffd
	v_dual_cndmask_b32 v10, v15, v13 :: v_dual_cndmask_b32 v11, v14, v12
	v_cmp_ne_u32_e32 vcc_lo, 0, v9
	s_wait_alu 0xfffd
	s_delay_alu instid0(VALU_DEP_2) | instskip(NEXT) | instid1(VALU_DEP_3)
	v_cndmask_b32_e32 v10, v6, v10, vcc_lo
	v_cndmask_b32_e32 v9, v2, v11, vcc_lo
.LBB0_4:                                ;   in Loop: Header=BB0_2 Depth=1
	s_wait_alu 0xfffe
	s_and_not1_saveexec_b32 s2, s20
	s_cbranch_execz .LBB0_6
; %bb.5:                                ;   in Loop: Header=BB0_2 Depth=1
	v_cvt_f32_u32_e32 v2, s18
	s_sub_co_i32 s20, 0, s18
	s_delay_alu instid0(VALU_DEP_1) | instskip(NEXT) | instid1(TRANS32_DEP_1)
	v_rcp_iflag_f32_e32 v2, v2
	v_mul_f32_e32 v2, 0x4f7ffffe, v2
	s_delay_alu instid0(VALU_DEP_1) | instskip(SKIP_1) | instid1(VALU_DEP_1)
	v_cvt_u32_f32_e32 v2, v2
	s_wait_alu 0xfffe
	v_mul_lo_u32 v6, s20, v2
	s_delay_alu instid0(VALU_DEP_1) | instskip(NEXT) | instid1(VALU_DEP_1)
	v_mul_hi_u32 v6, v2, v6
	v_add_nc_u32_e32 v2, v2, v6
	s_delay_alu instid0(VALU_DEP_1) | instskip(NEXT) | instid1(VALU_DEP_1)
	v_mul_hi_u32 v2, v7, v2
	v_mul_lo_u32 v6, v2, s18
	v_add_nc_u32_e32 v9, 1, v2
	s_delay_alu instid0(VALU_DEP_2) | instskip(NEXT) | instid1(VALU_DEP_1)
	v_sub_nc_u32_e32 v6, v7, v6
	v_subrev_nc_u32_e32 v10, s18, v6
	v_cmp_le_u32_e32 vcc_lo, s18, v6
	s_wait_alu 0xfffd
	s_delay_alu instid0(VALU_DEP_2) | instskip(SKIP_2) | instid1(VALU_DEP_3)
	v_cndmask_b32_e32 v6, v6, v10, vcc_lo
	v_mov_b32_e32 v10, v5
	v_cndmask_b32_e32 v2, v2, v9, vcc_lo
	v_cmp_le_u32_e32 vcc_lo, s18, v6
	s_delay_alu instid0(VALU_DEP_2) | instskip(SKIP_1) | instid1(VALU_DEP_1)
	v_add_nc_u32_e32 v9, 1, v2
	s_wait_alu 0xfffd
	v_cndmask_b32_e32 v9, v2, v9, vcc_lo
.LBB0_6:                                ;   in Loop: Header=BB0_2 Depth=1
	s_wait_alu 0xfffe
	s_or_b32 exec_lo, exec_lo, s2
	s_load_b64 s[20:21], s[12:13], 0x0
	v_mul_lo_u32 v2, v10, s18
	v_mul_lo_u32 v6, v9, s19
	v_mad_co_u64_u32 v[11:12], null, v9, s18, 0
	s_add_nc_u64 s[14:15], s[14:15], 1
	s_add_nc_u64 s[12:13], s[12:13], 8
	s_wait_alu 0xfffe
	v_cmp_ge_u64_e64 s2, s[14:15], s[6:7]
	s_add_nc_u64 s[16:17], s[16:17], 8
	s_delay_alu instid0(VALU_DEP_2) | instskip(NEXT) | instid1(VALU_DEP_3)
	v_add3_u32 v2, v12, v6, v2
	v_sub_co_u32 v6, vcc_lo, v7, v11
	s_wait_alu 0xfffd
	s_delay_alu instid0(VALU_DEP_2) | instskip(SKIP_3) | instid1(VALU_DEP_2)
	v_sub_co_ci_u32_e32 v2, vcc_lo, v8, v2, vcc_lo
	s_and_b32 vcc_lo, exec_lo, s2
	s_wait_kmcnt 0x0
	v_mul_lo_u32 v7, s21, v6
	v_mul_lo_u32 v2, s20, v2
	v_mad_co_u64_u32 v[3:4], null, s20, v6, v[3:4]
	s_delay_alu instid0(VALU_DEP_1)
	v_add3_u32 v4, v7, v4, v2
	s_wait_alu 0xfffe
	s_cbranch_vccnz .LBB0_8
; %bb.7:                                ;   in Loop: Header=BB0_2 Depth=1
	v_dual_mov_b32 v7, v9 :: v_dual_mov_b32 v8, v10
	s_branch .LBB0_2
.LBB0_8:
	s_lshl_b64 s[2:3], s[6:7], 3
	v_mul_hi_u32 v2, 0xaaaaaaab, v1
	s_wait_alu 0xfffe
	s_add_nc_u64 s[2:3], s[10:11], s[2:3]
	v_mul_hi_u32 v5, 0x3f03f04, v0
	s_load_b64 s[2:3], s[2:3], 0x0
	s_load_b64 s[0:1], s[0:1], 0x20
	s_delay_alu instid0(VALU_DEP_2) | instskip(NEXT) | instid1(VALU_DEP_2)
	v_lshrrev_b32_e32 v6, 1, v2
	v_mul_u32_u24_e32 v5, 0x41, v5
	s_delay_alu instid0(VALU_DEP_1) | instskip(NEXT) | instid1(VALU_DEP_1)
	v_sub_nc_u32_e32 v52, v0, v5
	v_add_nc_u32_e32 v56, 0x41, v52
	s_wait_kmcnt 0x0
	v_mul_lo_u32 v7, s2, v10
	v_mul_lo_u32 v8, s3, v9
	v_mad_co_u64_u32 v[2:3], null, s2, v9, v[3:4]
	v_lshl_add_u32 v4, v6, 1, v6
	v_cmp_gt_u64_e32 vcc_lo, s[0:1], v[9:10]
	v_cmp_le_u64_e64 s0, s[0:1], v[9:10]
	s_delay_alu instid0(VALU_DEP_3) | instskip(SKIP_1) | instid1(VALU_DEP_3)
	v_sub_nc_u32_e32 v0, v1, v4
	v_add3_u32 v3, v8, v3, v7
	s_and_saveexec_b32 s1, s0
	s_wait_alu 0xfffe
	s_xor_b32 s0, exec_lo, s1
; %bb.9:
	v_add_nc_u32_e32 v56, 0x41, v52
; %bb.10:
	s_wait_alu 0xfffe
	s_or_saveexec_b32 s1, s0
	v_mul_u32_u24_e32 v0, 0x28b, v0
	v_lshlrev_b64_e32 v[54:55], 4, v[2:3]
	v_lshlrev_b32_e32 v120, 4, v52
	s_delay_alu instid0(VALU_DEP_3)
	v_lshlrev_b32_e32 v36, 4, v0
	s_wait_alu 0xfffe
	s_xor_b32 exec_lo, exec_lo, s1
	s_cbranch_execz .LBB0_12
; %bb.11:
	v_mov_b32_e32 v53, 0
	v_add_co_u32 v2, s0, s8, v54
	s_wait_alu 0xf1ff
	v_add_co_ci_u32_e64 v3, s0, s9, v55, s0
	s_delay_alu instid0(VALU_DEP_3) | instskip(SKIP_1) | instid1(VALU_DEP_2)
	v_lshlrev_b64_e32 v[0:1], 4, v[52:53]
	v_add3_u32 v41, 0, v36, v120
	v_add_co_u32 v37, s0, v2, v0
	s_wait_alu 0xf1ff
	s_delay_alu instid0(VALU_DEP_3)
	v_add_co_ci_u32_e64 v38, s0, v3, v1, s0
	s_clause 0x9
	global_load_b128 v[0:3], v[37:38], off
	global_load_b128 v[4:7], v[37:38], off offset:1040
	global_load_b128 v[8:11], v[37:38], off offset:2080
	;; [unrolled: 1-line block ×9, first 2 shown]
	s_wait_loadcnt 0x9
	ds_store_b128 v41, v[0:3]
	s_wait_loadcnt 0x8
	ds_store_b128 v41, v[4:7] offset:1040
	s_wait_loadcnt 0x7
	ds_store_b128 v41, v[8:11] offset:2080
	;; [unrolled: 2-line block ×9, first 2 shown]
.LBB0_12:
	s_or_b32 exec_lo, exec_lo, s1
	v_add3_u32 v53, 0, v120, v36
	global_wb scope:SCOPE_SE
	s_wait_dscnt 0x0
	s_barrier_signal -1
	s_barrier_wait -1
	global_inv scope:SCOPE_SE
	ds_load_b128 v[0:3], v53 offset:5200
	ds_load_b128 v[4:7], v53 offset:7280
	;; [unrolled: 1-line block ×9, first 2 shown]
	v_add_nc_u32_e32 v121, 0, v36
	s_mov_b32 s0, 0x134454ff
	s_mov_b32 s1, 0xbfee6f0e
	;; [unrolled: 1-line block ×3, first 2 shown]
	s_wait_alu 0xfffe
	s_mov_b32 s2, s0
	v_add_nc_u32_e32 v119, v121, v120
	s_mov_b32 s6, 0x4755a5e
	s_mov_b32 s7, 0xbfe2cf23
	;; [unrolled: 1-line block ×3, first 2 shown]
	s_wait_alu 0xfffe
	s_mov_b32 s10, s6
	ds_load_b128 v[37:40], v119
	s_mov_b32 s12, 0x372fe950
	s_wait_dscnt 0x8
	v_add_f64_e32 v[41:42], v[2:3], v[6:7]
	v_add_f64_e32 v[45:46], v[0:1], v[4:5]
	s_wait_dscnt 0x6
	v_add_f64_e32 v[43:44], v[14:15], v[10:11]
	v_add_f64_e64 v[47:48], v[12:13], -v[8:9]
	v_add_f64_e32 v[49:50], v[12:13], v[8:9]
	v_add_f64_e64 v[57:58], v[0:1], -v[4:5]
	v_add_f64_e64 v[59:60], v[14:15], -v[10:11]
	s_wait_dscnt 0x3
	v_add_f64_e32 v[61:62], v[20:21], v[24:25]
	s_wait_dscnt 0x2
	v_add_f64_e32 v[63:64], v[16:17], v[28:29]
	v_add_f64_e32 v[65:66], v[22:23], v[26:27]
	;; [unrolled: 1-line block ×3, first 2 shown]
	v_add_f64_e64 v[69:70], v[14:15], -v[2:3]
	v_add_f64_e64 v[71:72], v[10:11], -v[6:7]
	;; [unrolled: 1-line block ×7, first 2 shown]
	s_wait_dscnt 0x1
	v_add_f64_e32 v[14:15], v[34:35], v[14:15]
	s_wait_dscnt 0x0
	v_add_f64_e32 v[95:96], v[37:38], v[16:17]
	v_add_f64_e32 v[97:98], v[39:40], v[18:19]
	v_add_f64_e64 v[89:90], v[16:17], -v[28:29]
	v_add_f64_e64 v[91:92], v[22:23], -v[26:27]
	;; [unrolled: 1-line block ×4, first 2 shown]
	s_mov_b32 s13, 0x3fd3c6ef
	s_mov_b32 s14, 0x9b97f4a8
	;; [unrolled: 1-line block ×6, first 2 shown]
	s_wait_alu 0xfffe
	s_mov_b32 s18, s14
	global_wb scope:SCOPE_SE
	s_barrier_signal -1
	s_barrier_wait -1
	global_inv scope:SCOPE_SE
	v_lshl_add_u32 v122, v56, 4, v121
	v_fma_f64 v[41:42], v[41:42], -0.5, v[34:35]
	v_fma_f64 v[45:46], v[45:46], -0.5, v[32:33]
	;; [unrolled: 1-line block ×3, first 2 shown]
	v_add_f64_e64 v[34:35], v[18:19], -v[30:31]
	v_fma_f64 v[49:50], v[49:50], -0.5, v[32:33]
	v_add_f64_e32 v[32:33], v[32:33], v[12:13]
	v_add_f64_e64 v[12:13], v[0:1], -v[12:13]
	v_fma_f64 v[61:62], v[61:62], -0.5, v[37:38]
	v_fma_f64 v[37:38], v[63:64], -0.5, v[37:38]
	;; [unrolled: 1-line block ×4, first 2 shown]
	v_add_f64_e32 v[65:66], v[69:70], v[71:72]
	v_add_f64_e32 v[67:68], v[73:74], v[75:76]
	v_add_f64_e32 v[69:70], v[77:78], v[79:80]
	v_add_f64_e64 v[77:78], v[18:19], -v[22:23]
	v_add_f64_e32 v[2:3], v[14:15], v[2:3]
	v_add_f64_e32 v[14:15], v[95:96], v[20:21]
	v_add_f64_e64 v[18:19], v[22:23], -v[18:19]
	v_add_f64_e64 v[79:80], v[28:29], -v[24:25]
	v_fma_f64 v[83:84], v[47:48], s[2:3], v[41:42]
	v_fma_f64 v[87:88], v[59:60], s[0:1], v[45:46]
	;; [unrolled: 1-line block ×8, first 2 shown]
	v_add_f64_e32 v[0:1], v[32:33], v[0:1]
	v_add_f64_e32 v[12:13], v[12:13], v[93:94]
	v_fma_f64 v[32:33], v[34:35], s[2:3], v[61:62]
	v_fma_f64 v[93:94], v[89:90], s[2:3], v[63:64]
	;; [unrolled: 1-line block ×5, first 2 shown]
	v_add_f64_e32 v[2:3], v[2:3], v[6:7]
	v_fma_f64 v[73:74], v[57:58], s[10:11], v[83:84]
	v_add_f64_e64 v[83:84], v[24:25], -v[28:29]
	v_fma_f64 v[75:76], v[47:48], s[10:11], v[85:86]
	v_fma_f64 v[43:44], v[47:48], s[6:7], v[43:44]
	;; [unrolled: 1-line block ×4, first 2 shown]
	v_add_f64_e64 v[57:58], v[16:17], -v[20:21]
	v_add_f64_e64 v[16:17], v[20:21], -v[16:17]
	v_add_f64_e32 v[20:21], v[97:98], v[22:23]
	v_add_f64_e64 v[85:86], v[30:31], -v[26:27]
	v_fma_f64 v[22:23], v[34:35], s[0:1], v[61:62]
	v_fma_f64 v[61:62], v[91:92], s[2:3], v[37:38]
	;; [unrolled: 1-line block ×6, first 2 shown]
	v_add_f64_e64 v[87:88], v[26:27], -v[30:31]
	v_add_f64_e32 v[0:1], v[0:1], v[4:5]
	v_add_f64_e32 v[4:5], v[14:15], v[24:25]
	;; [unrolled: 1-line block ×3, first 2 shown]
	v_fma_f64 v[59:60], v[65:66], s[12:13], v[73:74]
	v_fma_f64 v[73:74], v[67:68], s[12:13], v[75:76]
	v_fma_f64 v[43:44], v[67:68], s[12:13], v[43:44]
	v_fma_f64 v[47:48], v[69:70], s[12:13], v[47:48]
	v_fma_f64 v[41:42], v[65:66], s[12:13], v[41:42]
	v_add_f64_e32 v[57:58], v[57:58], v[79:80]
	v_add_f64_e32 v[16:17], v[16:17], v[83:84]
	;; [unrolled: 1-line block ×4, first 2 shown]
	v_fma_f64 v[14:15], v[91:92], s[6:7], v[22:23]
	v_fma_f64 v[26:27], v[99:100], s[10:11], v[93:94]
	;; [unrolled: 1-line block ×7, first 2 shown]
	v_add_f64_e32 v[18:19], v[18:19], v[87:88]
	v_fma_f64 v[20:21], v[91:92], s[10:11], v[32:33]
	v_fma_f64 v[22:23], v[34:35], s[6:7], v[61:62]
	;; [unrolled: 1-line block ×4, first 2 shown]
	v_add_f64_e32 v[8:9], v[0:1], v[8:9]
	v_add_f64_e32 v[4:5], v[4:5], v[28:29]
	v_mul_f64_e32 v[49:50], s[6:7], v[59:60]
	v_mul_f64_e32 v[61:62], s[0:1], v[73:74]
	;; [unrolled: 1-line block ×7, first 2 shown]
	s_wait_alu 0xfffe
	v_mul_f64_e32 v[41:42], s[18:19], v[41:42]
	v_add_f64_e32 v[6:7], v[6:7], v[30:31]
	v_fma_f64 v[28:29], v[57:58], s[12:13], v[14:15]
	v_fma_f64 v[26:27], v[65:66], s[12:13], v[26:27]
	;; [unrolled: 1-line block ×8, first 2 shown]
	v_add_f64_e32 v[0:1], v[4:5], v[8:9]
	v_add_f64_e64 v[4:5], v[4:5], -v[8:9]
	v_fma_f64 v[24:25], v[47:48], s[14:15], v[49:50]
	v_fma_f64 v[32:33], v[45:46], s[12:13], v[61:62]
	v_fma_f64 v[45:46], v[45:46], s[2:3], v[71:72]
	v_fma_f64 v[49:50], v[59:60], s[14:15], v[69:70]
	v_fma_f64 v[37:38], v[12:13], s[16:17], v[63:64]
	v_fma_f64 v[43:44], v[12:13], s[2:3], v[43:44]
	v_fma_f64 v[47:48], v[39:40], s[18:19], v[67:68]
	v_fma_f64 v[39:40], v[39:40], s[10:11], v[41:42]
	v_add_f64_e32 v[2:3], v[6:7], v[10:11]
	v_add_f64_e64 v[6:7], v[6:7], -v[10:11]
	v_and_b32_e32 v41, 0xff, v52
	v_and_b32_e32 v42, 0xff, v56
	s_delay_alu instid0(VALU_DEP_2) | instskip(NEXT) | instid1(VALU_DEP_2)
	v_mul_lo_u16 v41, 0xcd, v41
	v_mul_lo_u16 v42, 0xcd, v42
	s_delay_alu instid0(VALU_DEP_2) | instskip(NEXT) | instid1(VALU_DEP_2)
	v_lshrrev_b16 v51, 11, v41
	v_lshrrev_b16 v111, 11, v42
	s_delay_alu instid0(VALU_DEP_2) | instskip(NEXT) | instid1(VALU_DEP_2)
	v_mul_lo_u16 v41, v51, 10
	v_mul_lo_u16 v42, v111, 10
	s_delay_alu instid0(VALU_DEP_2) | instskip(NEXT) | instid1(VALU_DEP_2)
	v_sub_nc_u16 v41, v52, v41
	v_sub_nc_u16 v42, v56, v42
	s_delay_alu instid0(VALU_DEP_2) | instskip(NEXT) | instid1(VALU_DEP_2)
	v_and_b32_e32 v112, 0xff, v41
	v_and_b32_e32 v113, 0xff, v42
	v_add_f64_e32 v[8:9], v[28:29], v[24:25]
	v_add_f64_e64 v[24:25], v[28:29], -v[24:25]
	v_add_f64_e32 v[12:13], v[57:58], v[32:33]
	v_add_f64_e32 v[14:15], v[34:35], v[45:46]
	v_add_f64_e32 v[10:11], v[26:27], v[49:50]
	v_add_f64_e32 v[16:17], v[73:74], v[37:38]
	v_add_f64_e32 v[18:19], v[75:76], v[43:44]
	v_add_f64_e32 v[20:21], v[30:31], v[47:48]
	v_add_f64_e32 v[22:23], v[65:66], v[39:40]
	v_add_f64_e64 v[26:27], v[26:27], -v[49:50]
	v_add_f64_e64 v[28:29], v[57:58], -v[32:33]
	;; [unrolled: 1-line block ×7, first 2 shown]
	v_mad_u32_u24 v43, 0x90, v52, v53
	v_lshlrev_b32_e32 v41, 6, v112
	ds_store_b128 v43, v[0:3]
	ds_store_b128 v43, v[8:11] offset:16
	ds_store_b128 v43, v[12:15] offset:32
	;; [unrolled: 1-line block ×9, first 2 shown]
	v_lshlrev_b32_e32 v28, 6, v113
	global_wb scope:SCOPE_SE
	s_wait_dscnt 0x0
	s_barrier_signal -1
	s_barrier_wait -1
	global_inv scope:SCOPE_SE
	s_clause 0x7
	global_load_b128 v[0:3], v41, s[4:5]
	global_load_b128 v[4:7], v41, s[4:5] offset:16
	global_load_b128 v[8:11], v41, s[4:5] offset:32
	;; [unrolled: 1-line block ×3, first 2 shown]
	global_load_b128 v[16:19], v28, s[4:5]
	global_load_b128 v[20:23], v28, s[4:5] offset:16
	global_load_b128 v[24:27], v28, s[4:5] offset:32
	global_load_b128 v[28:31], v28, s[4:5] offset:48
	ds_load_b128 v[32:35], v53 offset:2080
	ds_load_b128 v[37:40], v53 offset:4160
	;; [unrolled: 1-line block ×8, first 2 shown]
	ds_load_b128 v[73:76], v119
	ds_load_b128 v[77:80], v122
	global_wb scope:SCOPE_SE
	s_wait_loadcnt_dscnt 0x0
	s_barrier_signal -1
	s_barrier_wait -1
	global_inv scope:SCOPE_SE
	v_mul_f64_e32 v[85:86], v[47:48], v[14:15]
	v_mul_f64_e32 v[49:50], v[34:35], v[2:3]
	;; [unrolled: 1-line block ×16, first 2 shown]
	v_fma_f64 v[32:33], v[32:33], v[0:1], v[49:50]
	v_fma_f64 v[37:38], v[37:38], v[4:5], v[81:82]
	;; [unrolled: 1-line block ×3, first 2 shown]
	v_fma_f64 v[0:1], v[34:35], v[0:1], -v[2:3]
	v_fma_f64 v[2:3], v[45:46], v[12:13], v[85:86]
	v_fma_f64 v[4:5], v[39:40], v[4:5], -v[6:7]
	v_fma_f64 v[6:7], v[43:44], v[8:9], -v[10:11]
	v_fma_f64 v[8:9], v[47:48], v[12:13], -v[14:15]
	v_fma_f64 v[10:11], v[57:58], v[16:17], v[87:88]
	v_fma_f64 v[12:13], v[61:62], v[20:21], v[89:90]
	;; [unrolled: 1-line block ×3, first 2 shown]
	v_fma_f64 v[16:17], v[59:60], v[16:17], -v[18:19]
	v_fma_f64 v[18:19], v[69:70], v[28:29], v[93:94]
	v_fma_f64 v[20:21], v[63:64], v[20:21], -v[22:23]
	v_fma_f64 v[22:23], v[67:68], v[24:25], -v[26:27]
	;; [unrolled: 1-line block ×3, first 2 shown]
	v_add_f64_e32 v[49:50], v[73:74], v[32:33]
	v_add_f64_e32 v[26:27], v[37:38], v[41:42]
	;; [unrolled: 1-line block ×4, first 2 shown]
	v_add_f64_e64 v[67:68], v[32:33], -v[2:3]
	v_add_f64_e32 v[30:31], v[4:5], v[6:7]
	v_add_f64_e32 v[34:35], v[0:1], v[8:9]
	;; [unrolled: 1-line block ×3, first 2 shown]
	v_add_f64_e64 v[63:64], v[0:1], -v[8:9]
	v_add_f64_e32 v[39:40], v[12:13], v[14:15]
	v_add_f64_e32 v[61:62], v[79:80], v[16:17]
	;; [unrolled: 1-line block ×3, first 2 shown]
	v_add_f64_e64 v[65:66], v[4:5], -v[6:7]
	v_add_f64_e32 v[45:46], v[20:21], v[22:23]
	v_add_f64_e32 v[47:48], v[16:17], v[24:25]
	v_add_f64_e64 v[69:70], v[37:38], -v[41:42]
	v_add_f64_e64 v[71:72], v[16:17], -v[24:25]
	;; [unrolled: 1-line block ×15, first 2 shown]
	v_fma_f64 v[26:27], v[26:27], -0.5, v[73:74]
	v_add_f64_e32 v[4:5], v[57:58], v[4:5]
	v_fma_f64 v[28:29], v[28:29], -0.5, v[73:74]
	v_add_f64_e64 v[73:74], v[20:21], -v[22:23]
	v_fma_f64 v[30:31], v[30:31], -0.5, v[75:76]
	v_fma_f64 v[34:35], v[34:35], -0.5, v[75:76]
	v_add_f64_e64 v[75:76], v[10:11], -v[18:19]
	v_add_f64_e64 v[10:11], v[12:13], -v[10:11]
	v_fma_f64 v[39:40], v[39:40], -0.5, v[77:78]
	v_add_f64_e32 v[20:21], v[61:62], v[20:21]
	v_fma_f64 v[43:44], v[43:44], -0.5, v[77:78]
	v_add_f64_e64 v[77:78], v[12:13], -v[14:15]
	v_fma_f64 v[45:46], v[45:46], -0.5, v[79:80]
	v_fma_f64 v[47:48], v[47:48], -0.5, v[79:80]
	v_add_f64_e64 v[79:80], v[32:33], -v[37:38]
	v_add_f64_e64 v[32:33], v[37:38], -v[32:33]
	v_add_f64_e32 v[37:38], v[49:50], v[37:38]
	v_add_f64_e32 v[12:13], v[59:60], v[12:13]
	v_fma_f64 v[49:50], v[63:64], s[0:1], v[26:27]
	v_fma_f64 v[26:27], v[63:64], s[2:3], v[26:27]
	;; [unrolled: 1-line block ×16, first 2 shown]
	v_add_f64_e32 v[79:80], v[79:80], v[81:82]
	v_add_f64_e32 v[81:82], v[32:33], v[83:84]
	v_add_f64_e32 v[83:84], v[85:86], v[87:88]
	v_add_f64_e32 v[85:86], v[0:1], v[89:90]
	v_add_f64_e32 v[87:88], v[91:92], v[93:94]
	v_add_f64_e32 v[89:90], v[10:11], v[95:96]
	v_add_f64_e32 v[91:92], v[97:98], v[99:100]
	v_add_f64_e32 v[93:94], v[16:17], v[101:102]
	v_add_f64_e32 v[0:1], v[37:38], v[41:42]
	v_add_f64_e32 v[4:5], v[4:5], v[6:7]
	v_add_f64_e32 v[6:7], v[12:13], v[14:15]
	v_add_f64_e32 v[10:11], v[20:21], v[22:23]
	v_cmp_gt_u32_e64 s0, 50, v52
	v_fma_f64 v[12:13], v[65:66], s[6:7], v[49:50]
	v_fma_f64 v[14:15], v[65:66], s[10:11], v[26:27]
	;; [unrolled: 1-line block ×16, first 2 shown]
	v_add_f64_e32 v[0:1], v[0:1], v[2:3]
	v_add_f64_e32 v[2:3], v[4:5], v[8:9]
	v_add_f64_e32 v[44:45], v[6:7], v[18:19]
	v_add_f64_e32 v[46:47], v[10:11], v[24:25]
	v_fma_f64 v[4:5], v[79:80], s[12:13], v[12:13]
	v_fma_f64 v[8:9], v[79:80], s[12:13], v[14:15]
	;; [unrolled: 1-line block ×16, first 2 shown]
	v_and_b32_e32 v37, 0xffff, v51
	v_and_b32_e32 v38, 0xffff, v111
	v_lshlrev_b32_e32 v39, 4, v112
	v_lshlrev_b32_e32 v40, 4, v113
                                        ; implicit-def: $vgpr42_vgpr43
                                        ; implicit-def: $vgpr50_vgpr51
	s_delay_alu instid0(VALU_DEP_4) | instskip(NEXT) | instid1(VALU_DEP_4)
	v_mad_u32_u24 v37, 0x320, v37, 0
	v_mad_u32_u24 v38, 0x320, v38, 0
	s_delay_alu instid0(VALU_DEP_2) | instskip(NEXT) | instid1(VALU_DEP_2)
	v_add3_u32 v37, v37, v39, v36
	v_add3_u32 v36, v38, v40, v36
	ds_store_b128 v37, v[0:3]
	ds_store_b128 v37, v[4:7] offset:160
	ds_store_b128 v37, v[32:35] offset:320
	ds_store_b128 v37, v[12:15] offset:480
	ds_store_b128 v37, v[8:11] offset:640
	ds_store_b128 v36, v[44:47]
	ds_store_b128 v36, v[16:19] offset:160
	ds_store_b128 v36, v[20:23] offset:320
	;; [unrolled: 1-line block ×4, first 2 shown]
	global_wb scope:SCOPE_SE
	s_wait_dscnt 0x0
	s_barrier_signal -1
	s_barrier_wait -1
	global_inv scope:SCOPE_SE
                                        ; implicit-def: $vgpr38_vgpr39
	s_and_saveexec_b32 s1, s0
	s_cbranch_execz .LBB0_14
; %bb.13:
	ds_load_b128 v[0:3], v119
	ds_load_b128 v[4:7], v53 offset:800
	ds_load_b128 v[32:35], v53 offset:1600
	;; [unrolled: 1-line block ×12, first 2 shown]
.LBB0_14:
	s_wait_alu 0xfffe
	s_or_b32 exec_lo, exec_lo, s1
	global_wb scope:SCOPE_SE
	s_wait_dscnt 0x0
	s_barrier_signal -1
	s_barrier_wait -1
	global_inv scope:SCOPE_SE
	s_and_saveexec_b32 s33, s0
	s_cbranch_execz .LBB0_16
; %bb.15:
	v_subrev_nc_u32_e32 v57, 50, v52
	v_mov_b32_e32 v58, 0
	s_mov_b32 s31, 0x3fddbe06
	s_mov_b32 s30, 0x4267c47c
	;; [unrolled: 1-line block ×3, first 2 shown]
	v_cndmask_b32_e64 v57, v57, v52, s0
	s_mov_b32 s2, 0x2ef20147
	s_mov_b32 s28, 0x42a4c3d2
	;; [unrolled: 1-line block ×4, first 2 shown]
	v_mul_i32_i24_e32 v57, 12, v57
	s_mov_b32 s7, 0x3fefc445
	s_mov_b32 s3, 0xbfedeba7
	;; [unrolled: 1-line block ×4, first 2 shown]
	v_lshlrev_b64_e32 v[57:58], 4, v[57:58]
	s_mov_b32 s21, 0xbfcea1e5
	s_mov_b32 s25, 0xbfea55e2
	;; [unrolled: 1-line block ×4, first 2 shown]
	s_wait_alu 0xfffe
	s_mov_b32 s22, s6
	v_add_co_u32 v63, s0, s4, v57
	s_wait_alu 0xf1ff
	v_add_co_ci_u32_e64 v64, s0, s5, v58, s0
	s_mov_b32 s26, 0xe00740e9
	s_mov_b32 s27, 0x3fec55a7
	s_mov_b32 s0, 0xebaa3ed8
	s_clause 0x1
	global_load_b128 v[59:62], v[63:64], off offset:704
	global_load_b128 v[65:68], v[63:64], off offset:720
	s_mov_b32 s10, 0xb2365da1
	s_mov_b32 s16, 0x1ea71119
	;; [unrolled: 1-line block ×11, first 2 shown]
	s_wait_loadcnt 0x1
	v_mul_f64_e32 v[57:58], v[46:47], v[61:62]
	s_delay_alu instid0(VALU_DEP_1) | instskip(SKIP_1) | instid1(VALU_DEP_1)
	v_fma_f64 v[57:58], v[44:45], v[59:60], v[57:58]
	v_mul_f64_e32 v[44:45], v[44:45], v[61:62]
	v_fma_f64 v[44:45], v[46:47], v[59:60], -v[44:45]
	s_clause 0x3
	global_load_b128 v[59:62], v[63:64], off offset:656
	global_load_b128 v[69:72], v[63:64], off offset:640
	;; [unrolled: 1-line block ×4, first 2 shown]
	s_wait_loadcnt 0x3
	v_mul_f64_e32 v[46:47], v[34:35], v[61:62]
	s_delay_alu instid0(VALU_DEP_1) | instskip(SKIP_1) | instid1(VALU_DEP_1)
	v_fma_f64 v[46:47], v[32:33], v[59:60], v[46:47]
	v_mul_f64_e32 v[32:33], v[32:33], v[61:62]
	v_fma_f64 v[59:60], v[34:35], v[59:60], -v[32:33]
	s_wait_loadcnt 0x1
	v_mul_f64_e32 v[32:33], v[50:51], v[75:76]
	v_mul_f64_e32 v[34:35], v[48:49], v[75:76]
	s_delay_alu instid0(VALU_DEP_2) | instskip(SKIP_1) | instid1(VALU_DEP_3)
	v_fma_f64 v[32:33], v[48:49], v[73:74], v[32:33]
	v_mul_f64_e32 v[48:49], v[6:7], v[71:72]
	v_fma_f64 v[34:35], v[50:51], v[73:74], -v[34:35]
	s_delay_alu instid0(VALU_DEP_2) | instskip(SKIP_1) | instid1(VALU_DEP_1)
	v_fma_f64 v[61:62], v[4:5], v[69:70], v[48:49]
	v_mul_f64_e32 v[4:5], v[4:5], v[71:72]
	v_fma_f64 v[87:88], v[6:7], v[69:70], -v[4:5]
	s_clause 0x1
	global_load_b128 v[48:51], v[63:64], off offset:752
	global_load_b128 v[69:72], v[63:64], off offset:736
	s_wait_loadcnt 0x2
	v_mul_f64_e32 v[4:5], v[42:43], v[79:80]
	v_mul_f64_e32 v[6:7], v[40:41], v[79:80]
	s_delay_alu instid0(VALU_DEP_2) | instskip(NEXT) | instid1(VALU_DEP_2)
	v_fma_f64 v[4:5], v[40:41], v[77:78], v[4:5]
	v_fma_f64 v[6:7], v[42:43], v[77:78], -v[6:7]
	s_delay_alu instid0(VALU_DEP_2) | instskip(NEXT) | instid1(VALU_DEP_2)
	v_add_f64_e64 v[89:90], v[61:62], -v[4:5]
	v_add_f64_e32 v[109:110], v[87:88], v[6:7]
	v_add_f64_e32 v[137:138], v[61:62], v[4:5]
	v_add_f64_e32 v[61:62], v[0:1], v[61:62]
	s_delay_alu instid0(VALU_DEP_4)
	v_mul_f64_e32 v[91:92], s[20:21], v[89:90]
	v_mul_f64_e32 v[97:98], s[18:19], v[89:90]
	;; [unrolled: 1-line block ×3, first 2 shown]
	s_wait_alu 0xfffe
	v_mul_f64_e32 v[101:102], s[22:23], v[89:90]
	v_mul_f64_e32 v[107:108], s[24:25], v[89:90]
	v_fma_f64 v[111:112], v[109:110], s[14:15], v[91:92]
	v_fma_f64 v[91:92], v[109:110], s[14:15], -v[91:92]
	v_fma_f64 v[113:114], v[109:110], s[12:13], v[97:98]
	v_fma_f64 v[97:98], v[109:110], s[12:13], -v[97:98]
	v_fma_f64 v[115:116], v[109:110], s[10:11], v[99:100]
	v_fma_f64 v[99:100], v[109:110], s[10:11], -v[99:100]
	v_fma_f64 v[123:124], v[109:110], s[0:1], v[101:102]
	v_fma_f64 v[101:102], v[109:110], s[0:1], -v[101:102]
	v_fma_f64 v[125:126], v[109:110], s[16:17], v[107:108]
	v_fma_f64 v[127:128], v[109:110], s[16:17], -v[107:108]
	v_add_f64_e32 v[111:112], v[2:3], v[111:112]
	v_add_f64_e32 v[153:154], v[2:3], v[91:92]
	;; [unrolled: 1-line block ×5, first 2 shown]
	s_wait_loadcnt 0x1
	v_mul_f64_e32 v[40:41], v[30:31], v[50:51]
	s_delay_alu instid0(VALU_DEP_1) | instskip(SKIP_1) | instid1(VALU_DEP_2)
	v_fma_f64 v[40:41], v[28:29], v[48:49], v[40:41]
	v_mul_f64_e32 v[28:29], v[28:29], v[50:51]
	v_add_f64_e32 v[171:172], v[57:58], v[40:41]
	s_delay_alu instid0(VALU_DEP_2)
	v_fma_f64 v[28:29], v[30:31], v[48:49], -v[28:29]
	s_clause 0x1
	global_load_b128 v[48:51], v[63:64], off offset:672
	global_load_b128 v[73:76], v[63:64], off offset:688
	v_add_f64_e32 v[169:170], v[44:45], v[28:29]
	s_wait_loadcnt 0x1
	v_mul_f64_e32 v[30:31], v[14:15], v[50:51]
	s_delay_alu instid0(VALU_DEP_1) | instskip(SKIP_1) | instid1(VALU_DEP_1)
	v_fma_f64 v[30:31], v[12:13], v[48:49], v[30:31]
	v_mul_f64_e32 v[12:13], v[12:13], v[50:51]
	v_fma_f64 v[42:43], v[14:15], v[48:49], -v[12:13]
	s_clause 0x1
	global_load_b128 v[48:51], v[63:64], off offset:784
	global_load_b128 v[77:80], v[63:64], off offset:768
	s_wait_loadcnt 0x1
	v_mul_f64_e32 v[12:13], v[38:39], v[50:51]
	v_mul_f64_e32 v[14:15], v[36:37], v[50:51]
	s_delay_alu instid0(VALU_DEP_2) | instskip(SKIP_1) | instid1(VALU_DEP_3)
	v_fma_f64 v[12:13], v[36:37], v[48:49], v[12:13]
	v_mul_f64_e32 v[36:37], v[10:11], v[75:76]
	v_fma_f64 v[14:15], v[38:39], v[48:49], -v[14:15]
	v_add_f64_e64 v[48:49], v[57:58], -v[40:41]
	s_delay_alu instid0(VALU_DEP_3) | instskip(SKIP_1) | instid1(VALU_DEP_3)
	v_fma_f64 v[36:37], v[8:9], v[73:74], v[36:37]
	v_mul_f64_e32 v[8:9], v[8:9], v[75:76]
	v_mul_f64_e32 v[95:96], s[30:31], v[48:49]
	;; [unrolled: 1-line block ×3, first 2 shown]
	s_delay_alu instid0(VALU_DEP_3) | instskip(SKIP_4) | instid1(VALU_DEP_3)
	v_fma_f64 v[38:39], v[10:11], v[73:74], -v[8:9]
	s_wait_loadcnt 0x0
	v_mul_f64_e32 v[8:9], v[26:27], v[79:80]
	v_mul_f64_e32 v[10:11], v[24:25], v[79:80]
	v_add_f64_e64 v[73:74], v[46:47], -v[32:33]
	v_fma_f64 v[8:9], v[24:25], v[77:78], v[8:9]
	v_mul_f64_e32 v[24:25], v[18:19], v[67:68]
	s_delay_alu instid0(VALU_DEP_4) | instskip(NEXT) | instid1(VALU_DEP_4)
	v_fma_f64 v[10:11], v[26:27], v[77:78], -v[10:11]
	v_mul_f64_e32 v[103:104], s[30:31], v[73:74]
	v_mul_f64_e32 v[193:194], s[20:21], v[73:74]
	v_add_f64_e32 v[167:168], v[36:37], v[8:9]
	v_fma_f64 v[24:25], v[16:17], v[65:66], v[24:25]
	v_mul_f64_e32 v[16:17], v[16:17], v[67:68]
	v_add_f64_e64 v[67:68], v[42:43], -v[14:15]
	v_add_f64_e64 v[63:64], v[38:39], -v[10:11]
	v_add_f64_e32 v[165:166], v[38:39], v[10:11]
	s_delay_alu instid0(VALU_DEP_4)
	v_fma_f64 v[18:19], v[18:19], v[65:66], -v[16:17]
	v_mul_f64_e32 v[16:17], v[22:23], v[71:72]
	v_add_f64_e64 v[65:66], v[36:37], -v[8:9]
	v_mul_f64_e32 v[83:84], s[30:31], v[67:68]
	v_mul_f64_e32 v[79:80], s[30:31], v[63:64]
	;; [unrolled: 1-line block ×4, first 2 shown]
	v_fma_f64 v[16:17], v[20:21], v[69:70], v[16:17]
	v_mul_f64_e32 v[20:21], v[20:21], v[71:72]
	v_add_f64_e64 v[71:72], v[59:60], -v[34:35]
	v_mul_f64_e32 v[81:82], s[30:31], v[65:66]
	v_mul_f64_e32 v[185:186], s[34:35], v[65:66]
	v_add_f64_e64 v[26:27], v[24:25], -v[16:17]
	v_fma_f64 v[20:21], v[22:23], v[69:70], -v[20:21]
	v_add_f64_e64 v[22:23], v[44:45], -v[28:29]
	v_add_f64_e64 v[69:70], v[30:31], -v[12:13]
	v_mul_f64_e32 v[105:106], s[30:31], v[71:72]
	v_add_f64_e32 v[179:180], v[24:25], v[16:17]
	v_mul_f64_e32 v[75:76], s[30:31], v[26:27]
	v_add_f64_e64 v[50:51], v[18:19], -v[20:21]
	v_mul_f64_e32 v[93:94], s[30:31], v[22:23]
	v_mul_f64_e32 v[85:86], s[30:31], v[69:70]
	v_add_f64_e32 v[175:176], v[18:19], v[20:21]
	v_mul_f64_e32 v[177:178], s[6:7], v[26:27]
	v_mul_f64_e32 v[191:192], s[6:7], v[22:23]
	v_mul_f64_e32 v[203:204], s[18:19], v[26:27]
	v_mul_f64_e32 v[77:78], s[30:31], v[50:51]
	s_mov_b32 s31, 0xbfddbe06
	v_mul_f64_e32 v[181:182], s[6:7], v[50:51]
	s_wait_alu 0xfffe
	v_mul_f64_e32 v[89:90], s[30:31], v[89:90]
	v_mul_f64_e32 v[205:206], s[18:19], v[50:51]
	s_delay_alu instid0(VALU_DEP_2) | instskip(SKIP_3) | instid1(VALU_DEP_3)
	v_fma_f64 v[129:130], v[109:110], s[26:27], v[89:90]
	v_fma_f64 v[131:132], v[109:110], s[26:27], -v[89:90]
	v_add_f64_e64 v[89:90], v[87:88], -v[6:7]
	v_add_f64_e32 v[87:88], v[2:3], v[87:88]
	v_add_f64_e32 v[97:98], v[2:3], v[131:132]
	s_delay_alu instid0(VALU_DEP_3)
	v_mul_f64_e32 v[107:108], s[20:21], v[89:90]
	v_mul_f64_e32 v[109:110], s[18:19], v[89:90]
	;; [unrolled: 1-line block ×6, first 2 shown]
	s_mov_b32 s31, 0x3fcea1e5
	s_mov_b32 s30, s20
	v_fma_f64 v[139:140], v[137:138], s[14:15], -v[107:108]
	v_fma_f64 v[107:108], v[137:138], s[14:15], v[107:108]
	v_fma_f64 v[141:142], v[137:138], s[12:13], -v[109:110]
	v_fma_f64 v[109:110], v[137:138], s[12:13], v[109:110]
	;; [unrolled: 2-line block ×6, first 2 shown]
	v_add_f64_e32 v[117:118], v[2:3], v[99:100]
	v_add_f64_e32 v[89:90], v[2:3], v[129:130]
	;; [unrolled: 1-line block ×19, first 2 shown]
	v_mul_f64_e32 v[127:128], s[18:19], v[69:70]
	v_add_f64_e32 v[151:152], v[30:31], v[12:13]
	s_delay_alu instid0(VALU_DEP_3) | instskip(SKIP_1) | instid1(VALU_DEP_2)
	v_fma_f64 v[113:114], v[0:1], s[26:27], v[103:104]
	v_fma_f64 v[103:104], v[0:1], s[26:27], -v[103:104]
	v_add_f64_e32 v[123:124], v[113:114], v[111:112]
	v_add_f64_e32 v[111:112], v[46:47], v[32:33]
	s_delay_alu instid0(VALU_DEP_3) | instskip(SKIP_1) | instid1(VALU_DEP_3)
	v_add_f64_e32 v[103:104], v[103:104], v[153:154]
	v_add_f64_e32 v[46:47], v[61:62], v[46:47]
	v_fma_f64 v[113:114], v[111:112], s[26:27], -v[105:106]
	v_fma_f64 v[105:106], v[111:112], s[26:27], v[105:106]
	s_delay_alu instid0(VALU_DEP_3) | instskip(NEXT) | instid1(VALU_DEP_3)
	v_add_f64_e32 v[30:31], v[46:47], v[30:31]
	v_add_f64_e32 v[125:126], v[113:114], v[139:140]
	;; [unrolled: 1-line block ×3, first 2 shown]
	s_delay_alu instid0(VALU_DEP_4) | instskip(NEXT) | instid1(VALU_DEP_4)
	v_add_f64_e32 v[105:106], v[105:106], v[155:156]
	v_add_f64_e32 v[30:31], v[30:31], v[36:37]
	s_delay_alu instid0(VALU_DEP_3) | instskip(SKIP_1) | instid1(VALU_DEP_3)
	v_fma_f64 v[129:130], v[113:114], s[12:13], v[127:128]
	v_fma_f64 v[127:128], v[113:114], s[12:13], -v[127:128]
	v_add_f64_e32 v[30:31], v[30:31], v[57:58]
	s_delay_alu instid0(VALU_DEP_3) | instskip(SKIP_1) | instid1(VALU_DEP_4)
	v_add_f64_e32 v[123:124], v[129:130], v[123:124]
	v_mul_f64_e32 v[129:130], s[18:19], v[67:68]
	v_add_f64_e32 v[103:104], v[127:128], v[103:104]
	s_delay_alu instid0(VALU_DEP_2) | instskip(SKIP_2) | instid1(VALU_DEP_3)
	v_fma_f64 v[131:132], v[151:152], s[12:13], -v[129:130]
	v_fma_f64 v[127:128], v[151:152], s[12:13], v[129:130]
	v_fma_f64 v[129:130], v[179:180], s[0:1], v[181:182]
	v_add_f64_e32 v[125:126], v[131:132], v[125:126]
	v_mul_f64_e32 v[131:132], s[28:29], v[65:66]
	s_delay_alu instid0(VALU_DEP_4) | instskip(NEXT) | instid1(VALU_DEP_2)
	v_add_f64_e32 v[105:106], v[127:128], v[105:106]
	v_fma_f64 v[133:134], v[165:166], s[16:17], v[131:132]
	v_fma_f64 v[127:128], v[165:166], s[16:17], -v[131:132]
	v_mul_f64_e32 v[131:132], s[6:7], v[73:74]
	s_delay_alu instid0(VALU_DEP_3) | instskip(SKIP_1) | instid1(VALU_DEP_4)
	v_add_f64_e32 v[123:124], v[133:134], v[123:124]
	v_mul_f64_e32 v[133:134], s[28:29], v[63:64]
	v_add_f64_e32 v[103:104], v[127:128], v[103:104]
	s_delay_alu instid0(VALU_DEP_2) | instskip(SKIP_4) | instid1(VALU_DEP_3)
	v_fma_f64 v[137:138], v[167:168], s[16:17], -v[133:134]
	v_fma_f64 v[127:128], v[167:168], s[16:17], v[133:134]
	v_mul_f64_e32 v[133:134], s[6:7], v[71:72]
	s_mov_b32 s7, 0x3fedeba7
	s_mov_b32 s6, s2
	v_add_f64_e32 v[125:126], v[137:138], v[125:126]
	v_mul_f64_e32 v[137:138], s[2:3], v[48:49]
	s_delay_alu instid0(VALU_DEP_4) | instskip(NEXT) | instid1(VALU_DEP_2)
	v_add_f64_e32 v[105:106], v[127:128], v[105:106]
	v_fma_f64 v[139:140], v[169:170], s[10:11], v[137:138]
	v_fma_f64 v[127:128], v[169:170], s[10:11], -v[137:138]
	v_mul_f64_e32 v[137:138], s[24:25], v[69:70]
	s_delay_alu instid0(VALU_DEP_3) | instskip(SKIP_1) | instid1(VALU_DEP_4)
	v_add_f64_e32 v[123:124], v[139:140], v[123:124]
	v_mul_f64_e32 v[139:140], s[2:3], v[22:23]
	v_add_f64_e32 v[103:104], v[127:128], v[103:104]
	s_delay_alu instid0(VALU_DEP_2) | instskip(SKIP_3) | instid1(VALU_DEP_4)
	v_fma_f64 v[127:128], v[171:172], s[10:11], v[139:140]
	v_fma_f64 v[173:174], v[171:172], s[10:11], -v[139:140]
	v_fma_f64 v[139:140], v[113:114], s[16:17], v[137:138]
	v_fma_f64 v[137:138], v[113:114], s[16:17], -v[137:138]
	v_add_f64_e32 v[127:128], v[127:128], v[105:106]
	v_fma_f64 v[105:106], v[175:176], s[0:1], -v[177:178]
	v_add_f64_e32 v[173:174], v[173:174], v[125:126]
	v_fma_f64 v[125:126], v[175:176], s[0:1], v[177:178]
	v_mul_f64_e32 v[177:178], s[2:3], v[73:74]
	s_delay_alu instid0(VALU_DEP_4)
	v_add_f64_e32 v[105:106], v[105:106], v[103:104]
	v_add_f64_e32 v[103:104], v[129:130], v[127:128]
	v_fma_f64 v[127:128], v[0:1], s[0:1], v[131:132]
	v_fma_f64 v[129:130], v[111:112], s[0:1], -v[133:134]
	v_fma_f64 v[131:132], v[0:1], s[0:1], -v[131:132]
	v_fma_f64 v[133:134], v[111:112], s[0:1], v[133:134]
	v_add_f64_e32 v[125:126], v[125:126], v[123:124]
	v_fma_f64 v[123:124], v[179:180], s[0:1], -v[181:182]
	v_mul_f64_e32 v[181:182], s[20:21], v[69:70]
	v_add_f64_e32 v[127:128], v[127:128], v[157:158]
	v_add_f64_e32 v[129:130], v[129:130], v[141:142]
	v_add_f64_e32 v[131:132], v[131:132], v[159:160]
	v_add_f64_e32 v[133:134], v[133:134], v[161:162]
	v_mul_f64_e32 v[157:158], s[2:3], v[26:27]
	v_add_f64_e32 v[123:124], v[123:124], v[173:174]
	v_mul_f64_e32 v[173:174], s[2:3], v[50:51]
	s_wait_alu 0xfffe
	v_mul_f64_e32 v[159:160], s[30:31], v[48:49]
	v_mul_f64_e32 v[161:162], s[30:31], v[22:23]
	v_add_f64_e32 v[127:128], v[139:140], v[127:128]
	v_mul_f64_e32 v[139:140], s[24:25], v[67:68]
	v_add_f64_e32 v[131:132], v[137:138], v[131:132]
	s_delay_alu instid0(VALU_DEP_2) | instskip(SKIP_1) | instid1(VALU_DEP_2)
	v_fma_f64 v[141:142], v[151:152], s[16:17], -v[139:140]
	v_fma_f64 v[137:138], v[151:152], s[16:17], v[139:140]
	v_add_f64_e32 v[129:130], v[141:142], v[129:130]
	v_mul_f64_e32 v[141:142], s[30:31], v[65:66]
	s_delay_alu instid0(VALU_DEP_3) | instskip(NEXT) | instid1(VALU_DEP_2)
	v_add_f64_e32 v[133:134], v[137:138], v[133:134]
	v_fma_f64 v[153:154], v[165:166], s[14:15], v[141:142]
	v_fma_f64 v[137:138], v[165:166], s[14:15], -v[141:142]
	s_delay_alu instid0(VALU_DEP_2) | instskip(SKIP_1) | instid1(VALU_DEP_3)
	v_add_f64_e32 v[127:128], v[153:154], v[127:128]
	v_mul_f64_e32 v[153:154], s[30:31], v[63:64]
	v_add_f64_e32 v[131:132], v[137:138], v[131:132]
	s_delay_alu instid0(VALU_DEP_2) | instskip(SKIP_3) | instid1(VALU_DEP_4)
	v_fma_f64 v[155:156], v[167:168], s[14:15], -v[153:154]
	v_fma_f64 v[137:138], v[167:168], s[14:15], v[153:154]
	v_mul_f64_e32 v[153:154], s[34:35], v[73:74]
	v_mul_f64_e32 v[73:74], s[24:25], v[73:74]
	v_add_f64_e32 v[129:130], v[155:156], v[129:130]
	v_fma_f64 v[155:156], v[169:170], s[26:27], v[95:96]
	v_fma_f64 v[95:96], v[169:170], s[26:27], -v[95:96]
	v_add_f64_e32 v[133:134], v[137:138], v[133:134]
	v_fma_f64 v[137:138], v[113:114], s[26:27], v[85:86]
	v_fma_f64 v[85:86], v[113:114], s[26:27], -v[85:86]
	v_add_f64_e32 v[127:128], v[155:156], v[127:128]
	v_fma_f64 v[155:156], v[171:172], s[26:27], -v[93:94]
	v_add_f64_e32 v[95:96], v[95:96], v[131:132]
	v_fma_f64 v[93:94], v[171:172], s[26:27], v[93:94]
	v_fma_f64 v[131:132], v[175:176], s[10:11], -v[157:158]
	s_delay_alu instid0(VALU_DEP_4) | instskip(SKIP_1) | instid1(VALU_DEP_4)
	v_add_f64_e32 v[155:156], v[155:156], v[129:130]
	v_fma_f64 v[129:130], v[175:176], s[10:11], v[157:158]
	v_add_f64_e32 v[93:94], v[93:94], v[133:134]
	v_fma_f64 v[133:134], v[179:180], s[10:11], v[173:174]
	;; [unrolled: 2-line block ×3, first 2 shown]
	v_mul_f64_e32 v[157:158], s[22:23], v[63:64]
	v_fma_f64 v[153:154], v[0:1], s[12:13], -v[153:154]
	v_mul_f64_e32 v[63:64], s[2:3], v[63:64]
	v_add_f64_e32 v[129:130], v[129:130], v[127:128]
	v_fma_f64 v[127:128], v[179:180], s[10:11], -v[173:174]
	v_add_f64_e32 v[93:94], v[133:134], v[93:94]
	v_mul_f64_e32 v[173:174], s[28:29], v[50:51]
	v_add_f64_e32 v[131:132], v[131:132], v[163:164]
	v_mul_f64_e32 v[163:164], s[28:29], v[26:27]
	;; [unrolled: 2-line block ×4, first 2 shown]
	v_add_f64_e32 v[131:132], v[137:138], v[131:132]
	v_fma_f64 v[137:138], v[151:152], s[26:27], -v[83:84]
	v_fma_f64 v[83:84], v[151:152], s[26:27], v[83:84]
	v_add_f64_e32 v[85:86], v[85:86], v[117:118]
	v_fma_f64 v[117:118], v[179:180], s[16:17], v[173:174]
	v_fma_f64 v[133:134], v[111:112], s[12:13], -v[155:156]
	v_fma_f64 v[153:154], v[111:112], s[12:13], v[155:156]
	s_delay_alu instid0(VALU_DEP_2) | instskip(SKIP_1) | instid1(VALU_DEP_3)
	v_add_f64_e32 v[133:134], v[133:134], v[143:144]
	v_mul_f64_e32 v[143:144], s[22:23], v[65:66]
	v_add_f64_e32 v[115:116], v[153:154], v[115:116]
	v_mul_f64_e32 v[65:66], s[2:3], v[65:66]
	s_delay_alu instid0(VALU_DEP_4) | instskip(NEXT) | instid1(VALU_DEP_4)
	v_add_f64_e32 v[133:134], v[137:138], v[133:134]
	v_fma_f64 v[137:138], v[165:166], s[0:1], v[143:144]
	s_delay_alu instid0(VALU_DEP_4) | instskip(SKIP_1) | instid1(VALU_DEP_3)
	v_add_f64_e32 v[83:84], v[83:84], v[115:116]
	v_fma_f64 v[115:116], v[165:166], s[0:1], -v[143:144]
	v_add_f64_e32 v[131:132], v[137:138], v[131:132]
	v_fma_f64 v[137:138], v[167:168], s[0:1], -v[157:158]
	s_delay_alu instid0(VALU_DEP_3) | instskip(SKIP_1) | instid1(VALU_DEP_3)
	v_add_f64_e32 v[85:86], v[115:116], v[85:86]
	v_fma_f64 v[115:116], v[167:168], s[0:1], v[157:158]
	v_add_f64_e32 v[133:134], v[137:138], v[133:134]
	v_fma_f64 v[137:138], v[169:170], s[14:15], v[159:160]
	s_delay_alu instid0(VALU_DEP_3) | instskip(SKIP_1) | instid1(VALU_DEP_3)
	v_add_f64_e32 v[83:84], v[115:116], v[83:84]
	v_fma_f64 v[115:116], v[169:170], s[14:15], -v[159:160]
	v_add_f64_e32 v[131:132], v[137:138], v[131:132]
	v_fma_f64 v[137:138], v[171:172], s[14:15], -v[161:162]
	s_delay_alu instid0(VALU_DEP_3) | instskip(SKIP_1) | instid1(VALU_DEP_3)
	v_add_f64_e32 v[85:86], v[115:116], v[85:86]
	v_fma_f64 v[115:116], v[171:172], s[14:15], v[161:162]
	v_add_f64_e32 v[137:138], v[137:138], v[133:134]
	v_fma_f64 v[133:134], v[175:176], s[16:17], v[163:164]
	s_delay_alu instid0(VALU_DEP_3) | instskip(SKIP_1) | instid1(VALU_DEP_3)
	v_add_f64_e32 v[83:84], v[115:116], v[83:84]
	v_fma_f64 v[115:116], v[175:176], s[16:17], -v[163:164]
	v_add_f64_e32 v[133:134], v[133:134], v[131:132]
	v_fma_f64 v[131:132], v[179:180], s[16:17], -v[173:174]
	s_delay_alu instid0(VALU_DEP_3) | instskip(SKIP_2) | instid1(VALU_DEP_4)
	v_add_f64_e32 v[85:86], v[115:116], v[85:86]
	v_fma_f64 v[115:116], v[0:1], s[14:15], v[193:194]
	v_add_f64_e32 v[83:84], v[117:118], v[83:84]
	v_add_f64_e32 v[131:132], v[131:132], v[137:138]
	v_fma_f64 v[137:138], v[0:1], s[10:11], -v[177:178]
	s_delay_alu instid0(VALU_DEP_4) | instskip(NEXT) | instid1(VALU_DEP_2)
	v_add_f64_e32 v[109:110], v[115:116], v[109:110]
	v_add_f64_e32 v[137:138], v[137:138], v[149:150]
	v_mul_f64_e32 v[149:150], s[2:3], v[71:72]
	s_delay_alu instid0(VALU_DEP_1) | instskip(NEXT) | instid1(VALU_DEP_1)
	v_fma_f64 v[139:140], v[111:112], s[10:11], v[149:150]
	v_add_f64_e32 v[135:136], v[139:140], v[135:136]
	v_fma_f64 v[139:140], v[113:114], s[14:15], -v[181:182]
	s_delay_alu instid0(VALU_DEP_1) | instskip(SKIP_1) | instid1(VALU_DEP_1)
	v_add_f64_e32 v[137:138], v[139:140], v[137:138]
	v_fma_f64 v[139:140], v[151:152], s[14:15], v[183:184]
	v_add_f64_e32 v[135:136], v[139:140], v[135:136]
	v_fma_f64 v[139:140], v[165:166], s[12:13], -v[185:186]
	s_delay_alu instid0(VALU_DEP_1) | instskip(SKIP_1) | instid1(VALU_DEP_1)
	v_add_f64_e32 v[137:138], v[139:140], v[137:138]
	;; [unrolled: 5-line block ×3, first 2 shown]
	v_fma_f64 v[139:140], v[171:172], s[0:1], v[191:192]
	v_add_f64_e32 v[135:136], v[139:140], v[135:136]
	v_fma_f64 v[139:140], v[175:176], s[26:27], -v[75:76]
	v_fma_f64 v[75:76], v[175:176], s[26:27], v[75:76]
	s_delay_alu instid0(VALU_DEP_2) | instskip(SKIP_1) | instid1(VALU_DEP_1)
	v_add_f64_e32 v[137:138], v[139:140], v[137:138]
	v_fma_f64 v[139:140], v[179:180], s[26:27], v[77:78]
	v_add_f64_e32 v[135:136], v[139:140], v[135:136]
	v_fma_f64 v[139:140], v[0:1], s[14:15], -v[193:194]
	s_delay_alu instid0(VALU_DEP_1) | instskip(SKIP_2) | instid1(VALU_DEP_2)
	v_add_f64_e32 v[139:140], v[139:140], v[145:146]
	v_mul_f64_e32 v[145:146], s[20:21], v[71:72]
	v_mul_f64_e32 v[71:72], s[24:25], v[71:72]
	v_fma_f64 v[141:142], v[111:112], s[14:15], v[145:146]
	v_fma_f64 v[115:116], v[111:112], s[14:15], -v[145:146]
	s_delay_alu instid0(VALU_DEP_2) | instskip(SKIP_1) | instid1(VALU_DEP_3)
	v_add_f64_e32 v[141:142], v[141:142], v[147:148]
	v_mul_f64_e32 v[147:148], s[6:7], v[69:70]
	v_add_f64_e32 v[107:108], v[115:116], v[107:108]
	v_mul_f64_e32 v[69:70], s[22:23], v[69:70]
	s_delay_alu instid0(VALU_DEP_3) | instskip(SKIP_1) | instid1(VALU_DEP_2)
	v_fma_f64 v[195:196], v[113:114], s[10:11], -v[147:148]
	v_fma_f64 v[115:116], v[113:114], s[10:11], v[147:148]
	v_add_f64_e32 v[139:140], v[195:196], v[139:140]
	v_mul_f64_e32 v[195:196], s[6:7], v[67:68]
	s_delay_alu instid0(VALU_DEP_3) | instskip(SKIP_1) | instid1(VALU_DEP_3)
	v_add_f64_e32 v[109:110], v[115:116], v[109:110]
	v_mul_f64_e32 v[67:68], s[22:23], v[67:68]
	v_fma_f64 v[197:198], v[151:152], s[10:11], v[195:196]
	v_fma_f64 v[115:116], v[151:152], s[10:11], -v[195:196]
	s_delay_alu instid0(VALU_DEP_2) | instskip(SKIP_1) | instid1(VALU_DEP_3)
	v_add_f64_e32 v[141:142], v[197:198], v[141:142]
	v_fma_f64 v[197:198], v[165:166], s[26:27], -v[81:82]
	v_add_f64_e32 v[107:108], v[115:116], v[107:108]
	v_fma_f64 v[81:82], v[165:166], s[26:27], v[81:82]
	s_delay_alu instid0(VALU_DEP_3) | instskip(SKIP_2) | instid1(VALU_DEP_4)
	v_add_f64_e32 v[139:140], v[197:198], v[139:140]
	v_fma_f64 v[197:198], v[167:168], s[26:27], v[79:80]
	v_fma_f64 v[79:80], v[167:168], s[26:27], -v[79:80]
	v_add_f64_e32 v[81:82], v[81:82], v[109:110]
	v_fma_f64 v[109:110], v[179:180], s[12:13], -v[205:206]
	s_delay_alu instid0(VALU_DEP_4) | instskip(SKIP_2) | instid1(VALU_DEP_2)
	v_add_f64_e32 v[141:142], v[197:198], v[141:142]
	v_mul_f64_e32 v[197:198], s[24:25], v[48:49]
	v_add_f64_e32 v[79:80], v[79:80], v[107:108]
	v_fma_f64 v[199:200], v[169:170], s[16:17], -v[197:198]
	v_fma_f64 v[107:108], v[169:170], s[16:17], v[197:198]
	s_delay_alu instid0(VALU_DEP_2) | instskip(SKIP_1) | instid1(VALU_DEP_3)
	v_add_f64_e32 v[139:140], v[199:200], v[139:140]
	v_mul_f64_e32 v[199:200], s[24:25], v[22:23]
	v_add_f64_e32 v[81:82], v[107:108], v[81:82]
	v_mul_f64_e32 v[22:23], s[18:19], v[22:23]
	s_delay_alu instid0(VALU_DEP_3) | instskip(SKIP_1) | instid1(VALU_DEP_2)
	v_fma_f64 v[107:108], v[171:172], s[16:17], -v[199:200]
	v_fma_f64 v[201:202], v[171:172], s[16:17], v[199:200]
	v_add_f64_e32 v[79:80], v[107:108], v[79:80]
	v_fma_f64 v[107:108], v[175:176], s[12:13], v[203:204]
	s_delay_alu instid0(VALU_DEP_3) | instskip(SKIP_1) | instid1(VALU_DEP_4)
	v_add_f64_e32 v[201:202], v[201:202], v[141:142]
	v_fma_f64 v[141:142], v[175:176], s[12:13], -v[203:204]
	v_add_f64_e32 v[79:80], v[109:110], v[79:80]
	s_delay_alu instid0(VALU_DEP_4) | instskip(SKIP_1) | instid1(VALU_DEP_4)
	v_add_f64_e32 v[81:82], v[107:108], v[81:82]
	v_fma_f64 v[107:108], v[0:1], s[10:11], v[177:178]
	v_add_f64_e32 v[141:142], v[141:142], v[139:140]
	v_fma_f64 v[139:140], v[179:180], s[12:13], v[205:206]
	s_delay_alu instid0(VALU_DEP_3) | instskip(SKIP_1) | instid1(VALU_DEP_3)
	v_add_f64_e32 v[101:102], v[107:108], v[101:102]
	v_fma_f64 v[107:108], v[111:112], s[10:11], -v[149:150]
	v_add_f64_e32 v[139:140], v[139:140], v[201:202]
	s_delay_alu instid0(VALU_DEP_2) | instskip(SKIP_1) | instid1(VALU_DEP_1)
	v_add_f64_e32 v[99:100], v[107:108], v[99:100]
	v_fma_f64 v[107:108], v[113:114], s[14:15], v[181:182]
	v_add_f64_e32 v[101:102], v[107:108], v[101:102]
	v_fma_f64 v[107:108], v[151:152], s[14:15], -v[183:184]
	s_delay_alu instid0(VALU_DEP_1) | instskip(SKIP_1) | instid1(VALU_DEP_1)
	v_add_f64_e32 v[99:100], v[107:108], v[99:100]
	v_fma_f64 v[107:108], v[165:166], s[12:13], v[185:186]
	v_add_f64_e32 v[101:102], v[107:108], v[101:102]
	v_fma_f64 v[107:108], v[167:168], s[12:13], -v[187:188]
	s_delay_alu instid0(VALU_DEP_1) | instskip(SKIP_1) | instid1(VALU_DEP_1)
	v_add_f64_e32 v[99:100], v[107:108], v[99:100]
	v_fma_f64 v[107:108], v[169:170], s[0:1], v[189:190]
	v_add_f64_e32 v[101:102], v[107:108], v[101:102]
	v_fma_f64 v[107:108], v[171:172], s[0:1], -v[191:192]
	s_delay_alu instid0(VALU_DEP_1) | instskip(SKIP_1) | instid1(VALU_DEP_4)
	v_add_f64_e32 v[99:100], v[107:108], v[99:100]
	v_fma_f64 v[107:108], v[179:180], s[26:27], -v[77:78]
	v_add_f64_e32 v[77:78], v[75:76], v[101:102]
	s_delay_alu instid0(VALU_DEP_2) | instskip(SKIP_2) | instid1(VALU_DEP_2)
	v_add_f64_e32 v[75:76], v[107:108], v[99:100]
	v_fma_f64 v[99:100], v[0:1], s[16:17], -v[73:74]
	v_fma_f64 v[0:1], v[0:1], s[16:17], v[73:74]
	v_add_f64_e32 v[97:98], v[99:100], v[97:98]
	v_fma_f64 v[99:100], v[111:112], s[16:17], v[71:72]
	s_delay_alu instid0(VALU_DEP_3) | instskip(NEXT) | instid1(VALU_DEP_2)
	v_add_f64_e32 v[0:1], v[0:1], v[89:90]
	v_add_f64_e32 v[2:3], v[99:100], v[2:3]
	v_fma_f64 v[99:100], v[113:114], s[0:1], -v[69:70]
	s_delay_alu instid0(VALU_DEP_1) | instskip(SKIP_1) | instid1(VALU_DEP_1)
	v_add_f64_e32 v[97:98], v[99:100], v[97:98]
	v_fma_f64 v[99:100], v[151:152], s[0:1], v[67:68]
	v_add_f64_e32 v[2:3], v[99:100], v[2:3]
	v_fma_f64 v[99:100], v[165:166], s[10:11], -v[65:66]
	s_delay_alu instid0(VALU_DEP_1) | instskip(SKIP_1) | instid1(VALU_DEP_1)
	v_add_f64_e32 v[97:98], v[99:100], v[97:98]
	v_fma_f64 v[99:100], v[167:168], s[10:11], v[63:64]
	v_add_f64_e32 v[2:3], v[99:100], v[2:3]
	v_mul_f64_e32 v[99:100], s[18:19], v[48:49]
	s_delay_alu instid0(VALU_DEP_1) | instskip(NEXT) | instid1(VALU_DEP_1)
	v_fma_f64 v[48:49], v[169:170], s[12:13], -v[99:100]
	v_add_f64_e32 v[48:49], v[48:49], v[97:98]
	v_fma_f64 v[97:98], v[171:172], s[12:13], v[22:23]
	s_delay_alu instid0(VALU_DEP_1) | instskip(SKIP_2) | instid1(VALU_DEP_1)
	v_add_f64_e32 v[2:3], v[97:98], v[2:3]
	v_mul_f64_e32 v[97:98], s[20:21], v[50:51]
	v_fma_f64 v[50:51], v[175:176], s[14:15], -v[26:27]
	v_add_f64_e32 v[50:51], v[50:51], v[48:49]
	s_delay_alu instid0(VALU_DEP_3) | instskip(NEXT) | instid1(VALU_DEP_1)
	v_fma_f64 v[48:49], v[179:180], s[14:15], v[97:98]
	v_add_f64_e32 v[48:49], v[48:49], v[2:3]
	v_add_f64_e32 v[2:3], v[87:88], v[59:60]
	s_delay_alu instid0(VALU_DEP_1) | instskip(NEXT) | instid1(VALU_DEP_1)
	v_add_f64_e32 v[2:3], v[2:3], v[42:43]
	v_add_f64_e32 v[2:3], v[2:3], v[38:39]
	s_delay_alu instid0(VALU_DEP_1) | instskip(NEXT) | instid1(VALU_DEP_1)
	v_add_f64_e32 v[2:3], v[2:3], v[44:45]
	v_add_f64_e32 v[2:3], v[2:3], v[18:19]
	;; [unrolled: 1-line block ×3, first 2 shown]
	s_delay_alu instid0(VALU_DEP_2) | instskip(NEXT) | instid1(VALU_DEP_2)
	v_add_f64_e32 v[2:3], v[2:3], v[20:21]
	v_add_f64_e32 v[16:17], v[18:19], v[16:17]
	s_delay_alu instid0(VALU_DEP_2) | instskip(NEXT) | instid1(VALU_DEP_2)
	v_add_f64_e32 v[2:3], v[2:3], v[28:29]
	v_add_f64_e32 v[16:17], v[16:17], v[40:41]
	;; [unrolled: 3-line block ×3, first 2 shown]
	v_fma_f64 v[10:11], v[151:152], s[0:1], -v[67:68]
	s_delay_alu instid0(VALU_DEP_3) | instskip(NEXT) | instid1(VALU_DEP_3)
	v_add_f64_e32 v[2:3], v[2:3], v[14:15]
	v_add_f64_e32 v[8:9], v[8:9], v[12:13]
	v_fma_f64 v[12:13], v[165:166], s[10:11], v[65:66]
	v_fma_f64 v[14:15], v[167:168], s[10:11], -v[63:64]
	s_delay_alu instid0(VALU_DEP_4) | instskip(NEXT) | instid1(VALU_DEP_4)
	v_add_f64_e32 v[2:3], v[2:3], v[34:35]
	v_add_f64_e32 v[8:9], v[8:9], v[32:33]
	s_delay_alu instid0(VALU_DEP_2) | instskip(SKIP_1) | instid1(VALU_DEP_3)
	v_add_f64_e32 v[6:7], v[2:3], v[6:7]
	v_fma_f64 v[2:3], v[111:112], s[16:17], -v[71:72]
	v_add_f64_e32 v[4:5], v[8:9], v[4:5]
	v_fma_f64 v[8:9], v[113:114], s[0:1], v[69:70]
	s_delay_alu instid0(VALU_DEP_3) | instskip(NEXT) | instid1(VALU_DEP_2)
	v_add_f64_e32 v[2:3], v[2:3], v[91:92]
	v_add_f64_e32 v[0:1], v[8:9], v[0:1]
	v_fma_f64 v[8:9], v[169:170], s[12:13], v[99:100]
	s_delay_alu instid0(VALU_DEP_3) | instskip(SKIP_1) | instid1(VALU_DEP_4)
	v_add_f64_e32 v[2:3], v[10:11], v[2:3]
	v_fma_f64 v[10:11], v[171:172], s[12:13], -v[22:23]
	v_add_f64_e32 v[0:1], v[12:13], v[0:1]
	v_fma_f64 v[12:13], v[175:176], s[14:15], v[26:27]
	s_delay_alu instid0(VALU_DEP_4) | instskip(SKIP_1) | instid1(VALU_DEP_4)
	v_add_f64_e32 v[2:3], v[14:15], v[2:3]
	v_fma_f64 v[14:15], v[179:180], s[14:15], -v[97:98]
	v_add_f64_e32 v[0:1], v[8:9], v[0:1]
	s_delay_alu instid0(VALU_DEP_3) | instskip(NEXT) | instid1(VALU_DEP_2)
	v_add_f64_e32 v[8:9], v[10:11], v[2:3]
	v_add_f64_e32 v[2:3], v[12:13], v[0:1]
	s_delay_alu instid0(VALU_DEP_2)
	v_add_f64_e32 v[0:1], v[14:15], v[8:9]
	ds_store_b128 v53, v[135:138] offset:1600
	ds_store_b128 v53, v[139:142] offset:2400
	;; [unrolled: 1-line block ×11, first 2 shown]
	ds_store_b128 v119, v[4:7]
	ds_store_b128 v53, v[0:3] offset:9600
.LBB0_16:
	s_or_b32 exec_lo, exec_lo, s33
	global_wb scope:SCOPE_SE
	s_wait_dscnt 0x0
	s_barrier_signal -1
	s_barrier_wait -1
	global_inv scope:SCOPE_SE
	ds_load_b128 v[4:7], v119
	v_sub_nc_u32_e32 v14, v121, v120
	s_mov_b32 s1, exec_lo
                                        ; implicit-def: $vgpr0_vgpr1
                                        ; implicit-def: $vgpr8_vgpr9
                                        ; implicit-def: $vgpr10_vgpr11
                                        ; implicit-def: $vgpr12_vgpr13
	v_cmpx_ne_u32_e32 0, v52
	s_wait_alu 0xfffe
	s_xor_b32 s1, exec_lo, s1
	s_cbranch_execz .LBB0_18
; %bb.17:
	v_mov_b32_e32 v53, 0
                                        ; implicit-def: $vgpr121
	s_delay_alu instid0(VALU_DEP_1) | instskip(NEXT) | instid1(VALU_DEP_1)
	v_lshlrev_b64_e32 v[0:1], 4, v[52:53]
	v_add_co_u32 v0, s0, s4, v0
	s_wait_alu 0xf1ff
	s_delay_alu instid0(VALU_DEP_2)
	v_add_co_ci_u32_e64 v1, s0, s5, v1, s0
	global_load_b128 v[15:18], v[0:1], off offset:10240
	ds_load_b128 v[0:3], v14 offset:10400
	s_wait_dscnt 0x0
	v_add_f64_e64 v[8:9], v[4:5], -v[0:1]
	v_add_f64_e32 v[10:11], v[6:7], v[2:3]
	v_add_f64_e64 v[2:3], v[6:7], -v[2:3]
	v_add_f64_e32 v[0:1], v[4:5], v[0:1]
	s_delay_alu instid0(VALU_DEP_4) | instskip(NEXT) | instid1(VALU_DEP_4)
	v_mul_f64_e32 v[6:7], 0.5, v[8:9]
	v_mul_f64_e32 v[4:5], 0.5, v[10:11]
	s_delay_alu instid0(VALU_DEP_4) | instskip(SKIP_1) | instid1(VALU_DEP_3)
	v_mul_f64_e32 v[2:3], 0.5, v[2:3]
	s_wait_loadcnt 0x0
	v_mul_f64_e32 v[8:9], v[6:7], v[17:18]
	s_delay_alu instid0(VALU_DEP_2) | instskip(SKIP_1) | instid1(VALU_DEP_3)
	v_fma_f64 v[10:11], v[4:5], v[17:18], v[2:3]
	v_fma_f64 v[2:3], v[4:5], v[17:18], -v[2:3]
	v_fma_f64 v[12:13], v[0:1], 0.5, v[8:9]
	v_fma_f64 v[0:1], v[0:1], 0.5, -v[8:9]
	s_delay_alu instid0(VALU_DEP_4) | instskip(NEXT) | instid1(VALU_DEP_4)
	v_fma_f64 v[10:11], -v[15:16], v[6:7], v[10:11]
	v_fma_f64 v[2:3], -v[15:16], v[6:7], v[2:3]
	s_delay_alu instid0(VALU_DEP_4) | instskip(NEXT) | instid1(VALU_DEP_4)
	v_fma_f64 v[8:9], v[4:5], v[15:16], v[12:13]
	v_fma_f64 v[0:1], -v[4:5], v[15:16], v[0:1]
	v_dual_mov_b32 v12, v52 :: v_dual_mov_b32 v13, v53
                                        ; implicit-def: $vgpr4_vgpr5
.LBB0_18:
	s_wait_alu 0xfffe
	s_and_not1_saveexec_b32 s0, s1
	s_cbranch_execz .LBB0_20
; %bb.19:
	s_wait_dscnt 0x0
	v_add_f64_e32 v[8:9], v[4:5], v[6:7]
	v_add_f64_e64 v[0:1], v[4:5], -v[6:7]
	ds_load_b64 v[4:5], v121 offset:5208
	v_mov_b32_e32 v10, 0
	v_dual_mov_b32 v11, 0 :: v_dual_mov_b32 v12, 0
	s_delay_alu instid0(VALU_DEP_2) | instskip(NEXT) | instid1(VALU_DEP_2)
	v_dual_mov_b32 v13, 0 :: v_dual_mov_b32 v2, v10
	v_mov_b32_e32 v3, v11
	s_wait_dscnt 0x0
	v_xor_b32_e32 v5, 0x80000000, v5
	ds_store_b64 v121, v[4:5] offset:5208
.LBB0_20:
	s_wait_alu 0xfffe
	s_or_b32 exec_lo, exec_lo, s0
	v_mov_b32_e32 v57, 0
	s_wait_dscnt 0x0
	s_delay_alu instid0(VALU_DEP_1) | instskip(NEXT) | instid1(VALU_DEP_1)
	v_lshlrev_b64_e32 v[4:5], 4, v[56:57]
	v_add_co_u32 v4, s0, s4, v4
	s_wait_alu 0xf1ff
	s_delay_alu instid0(VALU_DEP_2) | instskip(SKIP_4) | instid1(VALU_DEP_1)
	v_add_co_ci_u32_e64 v5, s0, s5, v5, s0
	s_add_nc_u64 s[0:1], s[4:5], 0x2800
	global_load_b128 v[15:18], v[4:5], off offset:10240
	v_lshlrev_b64_e32 v[4:5], 4, v[12:13]
	s_wait_alu 0xfffe
	v_add_co_u32 v23, s0, s0, v4
	s_wait_alu 0xf1ff
	s_delay_alu instid0(VALU_DEP_2)
	v_add_co_ci_u32_e64 v24, s0, s1, v5, s0
	global_load_b128 v[19:22], v[23:24], off offset:2080
	ds_store_2addr_b64 v119, v[8:9], v[10:11] offset1:1
	ds_store_b128 v14, v[0:3] offset:10400
	ds_load_b128 v[0:3], v122
	ds_load_b128 v[6:9], v14 offset:9360
	s_wait_dscnt 0x0
	v_add_f64_e64 v[10:11], v[0:1], -v[6:7]
	v_add_f64_e32 v[12:13], v[2:3], v[8:9]
	v_add_f64_e64 v[2:3], v[2:3], -v[8:9]
	v_add_f64_e32 v[0:1], v[0:1], v[6:7]
	s_delay_alu instid0(VALU_DEP_4) | instskip(NEXT) | instid1(VALU_DEP_4)
	v_mul_f64_e32 v[8:9], 0.5, v[10:11]
	v_mul_f64_e32 v[10:11], 0.5, v[12:13]
	s_delay_alu instid0(VALU_DEP_4) | instskip(SKIP_1) | instid1(VALU_DEP_3)
	v_mul_f64_e32 v[2:3], 0.5, v[2:3]
	s_wait_loadcnt 0x1
	v_mul_f64_e32 v[6:7], v[8:9], v[17:18]
	s_delay_alu instid0(VALU_DEP_2) | instskip(SKIP_1) | instid1(VALU_DEP_3)
	v_fma_f64 v[12:13], v[10:11], v[17:18], v[2:3]
	v_fma_f64 v[2:3], v[10:11], v[17:18], -v[2:3]
	v_fma_f64 v[17:18], v[0:1], 0.5, v[6:7]
	v_fma_f64 v[0:1], v[0:1], 0.5, -v[6:7]
	s_delay_alu instid0(VALU_DEP_4) | instskip(NEXT) | instid1(VALU_DEP_4)
	v_fma_f64 v[12:13], -v[15:16], v[8:9], v[12:13]
	v_fma_f64 v[2:3], -v[15:16], v[8:9], v[2:3]
	global_load_b128 v[6:9], v[23:24], off offset:3120
	v_fma_f64 v[17:18], v[10:11], v[15:16], v[17:18]
	v_fma_f64 v[0:1], -v[10:11], v[15:16], v[0:1]
	ds_store_2addr_b64 v122, v[17:18], v[12:13] offset1:1
	ds_store_b128 v14, v[0:3] offset:9360
	ds_load_b128 v[0:3], v119 offset:2080
	ds_load_b128 v[10:13], v14 offset:8320
	s_wait_dscnt 0x0
	v_add_f64_e64 v[15:16], v[0:1], -v[10:11]
	v_add_f64_e32 v[17:18], v[2:3], v[12:13]
	v_add_f64_e64 v[2:3], v[2:3], -v[12:13]
	v_add_f64_e32 v[0:1], v[0:1], v[10:11]
	s_delay_alu instid0(VALU_DEP_4) | instskip(NEXT) | instid1(VALU_DEP_4)
	v_mul_f64_e32 v[12:13], 0.5, v[15:16]
	v_mul_f64_e32 v[15:16], 0.5, v[17:18]
	s_delay_alu instid0(VALU_DEP_4) | instskip(SKIP_1) | instid1(VALU_DEP_3)
	v_mul_f64_e32 v[2:3], 0.5, v[2:3]
	s_wait_loadcnt 0x1
	v_mul_f64_e32 v[10:11], v[12:13], v[21:22]
	s_delay_alu instid0(VALU_DEP_2) | instskip(SKIP_1) | instid1(VALU_DEP_3)
	v_fma_f64 v[17:18], v[15:16], v[21:22], v[2:3]
	v_fma_f64 v[2:3], v[15:16], v[21:22], -v[2:3]
	v_fma_f64 v[21:22], v[0:1], 0.5, v[10:11]
	v_fma_f64 v[0:1], v[0:1], 0.5, -v[10:11]
	s_delay_alu instid0(VALU_DEP_4) | instskip(NEXT) | instid1(VALU_DEP_4)
	v_fma_f64 v[17:18], -v[19:20], v[12:13], v[17:18]
	v_fma_f64 v[2:3], -v[19:20], v[12:13], v[2:3]
	global_load_b128 v[10:13], v[23:24], off offset:4160
	v_add_nc_u32_e32 v23, 0x800, v119
	v_fma_f64 v[21:22], v[15:16], v[19:20], v[21:22]
	v_fma_f64 v[0:1], -v[15:16], v[19:20], v[0:1]
	ds_store_2addr_b64 v23, v[21:22], v[17:18] offset0:4 offset1:5
	ds_store_b128 v14, v[0:3] offset:8320
	ds_load_b128 v[0:3], v119 offset:3120
	ds_load_b128 v[15:18], v14 offset:7280
	s_wait_dscnt 0x0
	v_add_f64_e64 v[19:20], v[0:1], -v[15:16]
	v_add_f64_e32 v[21:22], v[2:3], v[17:18]
	v_add_f64_e64 v[2:3], v[2:3], -v[17:18]
	v_add_f64_e32 v[0:1], v[0:1], v[15:16]
	s_delay_alu instid0(VALU_DEP_4) | instskip(NEXT) | instid1(VALU_DEP_4)
	v_mul_f64_e32 v[17:18], 0.5, v[19:20]
	v_mul_f64_e32 v[19:20], 0.5, v[21:22]
	s_delay_alu instid0(VALU_DEP_4) | instskip(SKIP_1) | instid1(VALU_DEP_3)
	v_mul_f64_e32 v[2:3], 0.5, v[2:3]
	s_wait_loadcnt 0x1
	v_mul_f64_e32 v[15:16], v[17:18], v[8:9]
	s_delay_alu instid0(VALU_DEP_2) | instskip(SKIP_1) | instid1(VALU_DEP_3)
	v_fma_f64 v[21:22], v[19:20], v[8:9], v[2:3]
	v_fma_f64 v[2:3], v[19:20], v[8:9], -v[2:3]
	v_fma_f64 v[8:9], v[0:1], 0.5, v[15:16]
	v_fma_f64 v[0:1], v[0:1], 0.5, -v[15:16]
	s_delay_alu instid0(VALU_DEP_4) | instskip(NEXT) | instid1(VALU_DEP_4)
	v_fma_f64 v[15:16], -v[6:7], v[17:18], v[21:22]
	v_fma_f64 v[2:3], -v[6:7], v[17:18], v[2:3]
	s_delay_alu instid0(VALU_DEP_4) | instskip(NEXT) | instid1(VALU_DEP_4)
	v_fma_f64 v[8:9], v[19:20], v[6:7], v[8:9]
	v_fma_f64 v[0:1], -v[19:20], v[6:7], v[0:1]
	ds_store_2addr_b64 v23, v[8:9], v[15:16] offset0:134 offset1:135
	ds_store_b128 v14, v[0:3] offset:7280
	ds_load_b128 v[0:3], v119 offset:4160
	ds_load_b128 v[6:9], v14 offset:6240
	s_wait_dscnt 0x0
	v_add_f64_e64 v[15:16], v[0:1], -v[6:7]
	v_add_f64_e32 v[17:18], v[2:3], v[8:9]
	v_add_f64_e64 v[2:3], v[2:3], -v[8:9]
	v_add_f64_e32 v[0:1], v[0:1], v[6:7]
	s_delay_alu instid0(VALU_DEP_4) | instskip(NEXT) | instid1(VALU_DEP_4)
	v_mul_f64_e32 v[8:9], 0.5, v[15:16]
	v_mul_f64_e32 v[15:16], 0.5, v[17:18]
	s_delay_alu instid0(VALU_DEP_4) | instskip(SKIP_1) | instid1(VALU_DEP_3)
	v_mul_f64_e32 v[2:3], 0.5, v[2:3]
	s_wait_loadcnt 0x0
	v_mul_f64_e32 v[6:7], v[8:9], v[12:13]
	s_delay_alu instid0(VALU_DEP_2) | instskip(SKIP_1) | instid1(VALU_DEP_3)
	v_fma_f64 v[17:18], v[15:16], v[12:13], v[2:3]
	v_fma_f64 v[2:3], v[15:16], v[12:13], -v[2:3]
	v_fma_f64 v[12:13], v[0:1], 0.5, v[6:7]
	v_fma_f64 v[0:1], v[0:1], 0.5, -v[6:7]
	s_delay_alu instid0(VALU_DEP_4) | instskip(NEXT) | instid1(VALU_DEP_4)
	v_fma_f64 v[6:7], -v[10:11], v[8:9], v[17:18]
	v_fma_f64 v[2:3], -v[10:11], v[8:9], v[2:3]
	s_delay_alu instid0(VALU_DEP_4) | instskip(NEXT) | instid1(VALU_DEP_4)
	v_fma_f64 v[8:9], v[15:16], v[10:11], v[12:13]
	v_fma_f64 v[0:1], -v[15:16], v[10:11], v[0:1]
	v_add_nc_u32_e32 v10, 0x1000, v119
	ds_store_2addr_b64 v10, v[8:9], v[6:7] offset0:8 offset1:9
	ds_store_b128 v14, v[0:3] offset:6240
	global_wb scope:SCOPE_SE
	s_wait_dscnt 0x0
	s_barrier_signal -1
	s_barrier_wait -1
	global_inv scope:SCOPE_SE
	s_and_saveexec_b32 s0, vcc_lo
	s_cbranch_execz .LBB0_23
; %bb.21:
	ds_load_b128 v[6:9], v119
	ds_load_b128 v[10:13], v119 offset:1040
	ds_load_b128 v[14:17], v119 offset:2080
	;; [unrolled: 1-line block ×9, first 2 shown]
	v_add_co_u32 v0, vcc_lo, s8, v54
	s_wait_alu 0xfffd
	v_add_co_ci_u32_e32 v1, vcc_lo, s9, v55, vcc_lo
	s_delay_alu instid0(VALU_DEP_2) | instskip(SKIP_1) | instid1(VALU_DEP_2)
	v_add_co_u32 v2, vcc_lo, v0, v4
	s_wait_alu 0xfffd
	v_add_co_ci_u32_e32 v3, vcc_lo, v1, v5, vcc_lo
	v_cmp_eq_u32_e32 vcc_lo, 64, v52
	s_wait_dscnt 0x9
	global_store_b128 v[2:3], v[6:9], off
	s_wait_dscnt 0x8
	global_store_b128 v[2:3], v[10:13], off offset:1040
	s_wait_dscnt 0x7
	global_store_b128 v[2:3], v[14:17], off offset:2080
	;; [unrolled: 2-line block ×9, first 2 shown]
	s_and_b32 exec_lo, exec_lo, vcc_lo
	s_cbranch_execz .LBB0_23
; %bb.22:
	ds_load_b128 v[2:5], v119 offset:9376
	s_wait_dscnt 0x0
	global_store_b128 v[0:1], v[2:5], off offset:10400
.LBB0_23:
	s_nop 0
	s_sendmsg sendmsg(MSG_DEALLOC_VGPRS)
	s_endpgm
	.section	.rodata,"a",@progbits
	.p2align	6, 0x0
	.amdhsa_kernel fft_rtc_back_len650_factors_10_5_13_wgs_195_tpt_65_dp_ip_CI_unitstride_sbrr_R2C_dirReg
		.amdhsa_group_segment_fixed_size 0
		.amdhsa_private_segment_fixed_size 0
		.amdhsa_kernarg_size 88
		.amdhsa_user_sgpr_count 2
		.amdhsa_user_sgpr_dispatch_ptr 0
		.amdhsa_user_sgpr_queue_ptr 0
		.amdhsa_user_sgpr_kernarg_segment_ptr 1
		.amdhsa_user_sgpr_dispatch_id 0
		.amdhsa_user_sgpr_private_segment_size 0
		.amdhsa_wavefront_size32 1
		.amdhsa_uses_dynamic_stack 0
		.amdhsa_enable_private_segment 0
		.amdhsa_system_sgpr_workgroup_id_x 1
		.amdhsa_system_sgpr_workgroup_id_y 0
		.amdhsa_system_sgpr_workgroup_id_z 0
		.amdhsa_system_sgpr_workgroup_info 0
		.amdhsa_system_vgpr_workitem_id 0
		.amdhsa_next_free_vgpr 207
		.amdhsa_next_free_sgpr 36
		.amdhsa_reserve_vcc 1
		.amdhsa_float_round_mode_32 0
		.amdhsa_float_round_mode_16_64 0
		.amdhsa_float_denorm_mode_32 3
		.amdhsa_float_denorm_mode_16_64 3
		.amdhsa_fp16_overflow 0
		.amdhsa_workgroup_processor_mode 1
		.amdhsa_memory_ordered 1
		.amdhsa_forward_progress 0
		.amdhsa_round_robin_scheduling 0
		.amdhsa_exception_fp_ieee_invalid_op 0
		.amdhsa_exception_fp_denorm_src 0
		.amdhsa_exception_fp_ieee_div_zero 0
		.amdhsa_exception_fp_ieee_overflow 0
		.amdhsa_exception_fp_ieee_underflow 0
		.amdhsa_exception_fp_ieee_inexact 0
		.amdhsa_exception_int_div_zero 0
	.end_amdhsa_kernel
	.text
.Lfunc_end0:
	.size	fft_rtc_back_len650_factors_10_5_13_wgs_195_tpt_65_dp_ip_CI_unitstride_sbrr_R2C_dirReg, .Lfunc_end0-fft_rtc_back_len650_factors_10_5_13_wgs_195_tpt_65_dp_ip_CI_unitstride_sbrr_R2C_dirReg
                                        ; -- End function
	.section	.AMDGPU.csdata,"",@progbits
; Kernel info:
; codeLenInByte = 9848
; NumSgprs: 38
; NumVgprs: 207
; ScratchSize: 0
; MemoryBound: 0
; FloatMode: 240
; IeeeMode: 1
; LDSByteSize: 0 bytes/workgroup (compile time only)
; SGPRBlocks: 4
; VGPRBlocks: 25
; NumSGPRsForWavesPerEU: 38
; NumVGPRsForWavesPerEU: 207
; Occupancy: 7
; WaveLimiterHint : 1
; COMPUTE_PGM_RSRC2:SCRATCH_EN: 0
; COMPUTE_PGM_RSRC2:USER_SGPR: 2
; COMPUTE_PGM_RSRC2:TRAP_HANDLER: 0
; COMPUTE_PGM_RSRC2:TGID_X_EN: 1
; COMPUTE_PGM_RSRC2:TGID_Y_EN: 0
; COMPUTE_PGM_RSRC2:TGID_Z_EN: 0
; COMPUTE_PGM_RSRC2:TIDIG_COMP_CNT: 0
	.text
	.p2alignl 7, 3214868480
	.fill 96, 4, 3214868480
	.type	__hip_cuid_f72ff0c84863a40,@object ; @__hip_cuid_f72ff0c84863a40
	.section	.bss,"aw",@nobits
	.globl	__hip_cuid_f72ff0c84863a40
__hip_cuid_f72ff0c84863a40:
	.byte	0                               ; 0x0
	.size	__hip_cuid_f72ff0c84863a40, 1

	.ident	"AMD clang version 19.0.0git (https://github.com/RadeonOpenCompute/llvm-project roc-6.4.0 25133 c7fe45cf4b819c5991fe208aaa96edf142730f1d)"
	.section	".note.GNU-stack","",@progbits
	.addrsig
	.addrsig_sym __hip_cuid_f72ff0c84863a40
	.amdgpu_metadata
---
amdhsa.kernels:
  - .args:
      - .actual_access:  read_only
        .address_space:  global
        .offset:         0
        .size:           8
        .value_kind:     global_buffer
      - .offset:         8
        .size:           8
        .value_kind:     by_value
      - .actual_access:  read_only
        .address_space:  global
        .offset:         16
        .size:           8
        .value_kind:     global_buffer
      - .actual_access:  read_only
        .address_space:  global
        .offset:         24
        .size:           8
        .value_kind:     global_buffer
      - .offset:         32
        .size:           8
        .value_kind:     by_value
      - .actual_access:  read_only
        .address_space:  global
        .offset:         40
        .size:           8
        .value_kind:     global_buffer
      - .actual_access:  read_only
        .address_space:  global
        .offset:         48
        .size:           8
        .value_kind:     global_buffer
      - .offset:         56
        .size:           4
        .value_kind:     by_value
      - .actual_access:  read_only
        .address_space:  global
        .offset:         64
        .size:           8
        .value_kind:     global_buffer
      - .actual_access:  read_only
        .address_space:  global
        .offset:         72
        .size:           8
        .value_kind:     global_buffer
      - .address_space:  global
        .offset:         80
        .size:           8
        .value_kind:     global_buffer
    .group_segment_fixed_size: 0
    .kernarg_segment_align: 8
    .kernarg_segment_size: 88
    .language:       OpenCL C
    .language_version:
      - 2
      - 0
    .max_flat_workgroup_size: 195
    .name:           fft_rtc_back_len650_factors_10_5_13_wgs_195_tpt_65_dp_ip_CI_unitstride_sbrr_R2C_dirReg
    .private_segment_fixed_size: 0
    .sgpr_count:     38
    .sgpr_spill_count: 0
    .symbol:         fft_rtc_back_len650_factors_10_5_13_wgs_195_tpt_65_dp_ip_CI_unitstride_sbrr_R2C_dirReg.kd
    .uniform_work_group_size: 1
    .uses_dynamic_stack: false
    .vgpr_count:     207
    .vgpr_spill_count: 0
    .wavefront_size: 32
    .workgroup_processor_mode: 1
amdhsa.target:   amdgcn-amd-amdhsa--gfx1201
amdhsa.version:
  - 1
  - 2
...

	.end_amdgpu_metadata
